;; amdgpu-corpus repo=ROCm/rocFFT kind=compiled arch=gfx906 opt=O3
	.text
	.amdgcn_target "amdgcn-amd-amdhsa--gfx906"
	.amdhsa_code_object_version 6
	.protected	fft_rtc_fwd_len595_factors_7_17_5_wgs_51_tpt_17_halfLds_sp_op_CI_CI_sbrr_dirReg ; -- Begin function fft_rtc_fwd_len595_factors_7_17_5_wgs_51_tpt_17_halfLds_sp_op_CI_CI_sbrr_dirReg
	.globl	fft_rtc_fwd_len595_factors_7_17_5_wgs_51_tpt_17_halfLds_sp_op_CI_CI_sbrr_dirReg
	.p2align	8
	.type	fft_rtc_fwd_len595_factors_7_17_5_wgs_51_tpt_17_halfLds_sp_op_CI_CI_sbrr_dirReg,@function
fft_rtc_fwd_len595_factors_7_17_5_wgs_51_tpt_17_halfLds_sp_op_CI_CI_sbrr_dirReg: ; @fft_rtc_fwd_len595_factors_7_17_5_wgs_51_tpt_17_halfLds_sp_op_CI_CI_sbrr_dirReg
; %bb.0:
	s_load_dwordx4 s[16:19], s[4:5], 0x18
	s_load_dwordx4 s[12:15], s[4:5], 0x0
	;; [unrolled: 1-line block ×3, first 2 shown]
	v_mul_u32_u24_e32 v1, 0xf10, v0
	v_lshrrev_b32_e32 v1, 16, v1
	v_mad_u64_u32 v[5:6], s[0:1], s6, 3, v[1:2]
	s_waitcnt lgkmcnt(0)
	s_load_dwordx2 s[20:21], s[16:17], 0x0
	s_load_dwordx2 s[2:3], s[18:19], 0x0
	v_mov_b32_e32 v10, 0
	v_cmp_lt_u64_e64 s[0:1], s[14:15], 2
	v_mov_b32_e32 v8, 0
	v_mov_b32_e32 v6, v10
	;; [unrolled: 1-line block ×5, first 2 shown]
	s_and_b64 vcc, exec, s[0:1]
	v_mov_b32_e32 v2, v9
	v_mov_b32_e32 v4, v6
	s_cbranch_vccnz .LBB0_8
; %bb.1:
	s_load_dwordx2 s[0:1], s[4:5], 0x10
	s_add_u32 s6, s18, 8
	s_addc_u32 s7, s19, 0
	s_add_u32 s22, s16, 8
	s_addc_u32 s23, s17, 0
	v_mov_b32_e32 v8, 0
	s_waitcnt lgkmcnt(0)
	s_add_u32 s24, s0, 8
	v_mov_b32_e32 v9, 0
	v_mov_b32_e32 v1, v8
	;; [unrolled: 1-line block ×3, first 2 shown]
	s_addc_u32 s25, s1, 0
	s_mov_b64 s[26:27], 1
	v_mov_b32_e32 v2, v9
	v_mov_b32_e32 v6, v5
.LBB0_2:                                ; =>This Inner Loop Header: Depth=1
	s_load_dwordx2 s[28:29], s[24:25], 0x0
                                        ; implicit-def: $vgpr3_vgpr4
	s_waitcnt lgkmcnt(0)
	v_or_b32_e32 v11, s29, v7
	v_cmp_ne_u64_e32 vcc, 0, v[10:11]
	s_and_saveexec_b64 s[0:1], vcc
	s_xor_b64 s[30:31], exec, s[0:1]
	s_cbranch_execz .LBB0_4
; %bb.3:                                ;   in Loop: Header=BB0_2 Depth=1
	v_cvt_f32_u32_e32 v3, s28
	v_cvt_f32_u32_e32 v4, s29
	s_sub_u32 s0, 0, s28
	s_subb_u32 s1, 0, s29
	v_mac_f32_e32 v3, 0x4f800000, v4
	v_rcp_f32_e32 v3, v3
	v_mul_f32_e32 v3, 0x5f7ffffc, v3
	v_mul_f32_e32 v4, 0x2f800000, v3
	v_trunc_f32_e32 v4, v4
	v_mac_f32_e32 v3, 0xcf800000, v4
	v_cvt_u32_f32_e32 v4, v4
	v_cvt_u32_f32_e32 v3, v3
	v_mul_lo_u32 v11, s0, v4
	v_mul_hi_u32 v12, s0, v3
	v_mul_lo_u32 v14, s1, v3
	v_mul_lo_u32 v13, s0, v3
	v_add_u32_e32 v11, v12, v11
	v_add_u32_e32 v11, v11, v14
	v_mul_hi_u32 v12, v3, v13
	v_mul_lo_u32 v14, v3, v11
	v_mul_hi_u32 v16, v3, v11
	v_mul_hi_u32 v15, v4, v13
	v_mul_lo_u32 v13, v4, v13
	v_mul_hi_u32 v17, v4, v11
	v_add_co_u32_e32 v12, vcc, v12, v14
	v_addc_co_u32_e32 v14, vcc, 0, v16, vcc
	v_mul_lo_u32 v11, v4, v11
	v_add_co_u32_e32 v12, vcc, v12, v13
	v_addc_co_u32_e32 v12, vcc, v14, v15, vcc
	v_addc_co_u32_e32 v13, vcc, 0, v17, vcc
	v_add_co_u32_e32 v11, vcc, v12, v11
	v_addc_co_u32_e32 v12, vcc, 0, v13, vcc
	v_add_co_u32_e32 v3, vcc, v3, v11
	v_addc_co_u32_e32 v4, vcc, v4, v12, vcc
	v_mul_lo_u32 v11, s0, v4
	v_mul_hi_u32 v12, s0, v3
	v_mul_lo_u32 v13, s1, v3
	v_mul_lo_u32 v14, s0, v3
	v_add_u32_e32 v11, v12, v11
	v_add_u32_e32 v11, v11, v13
	v_mul_lo_u32 v15, v3, v11
	v_mul_hi_u32 v16, v3, v14
	v_mul_hi_u32 v17, v3, v11
	;; [unrolled: 1-line block ×3, first 2 shown]
	v_mul_lo_u32 v14, v4, v14
	v_mul_hi_u32 v12, v4, v11
	v_add_co_u32_e32 v15, vcc, v16, v15
	v_addc_co_u32_e32 v16, vcc, 0, v17, vcc
	v_mul_lo_u32 v11, v4, v11
	v_add_co_u32_e32 v14, vcc, v15, v14
	v_addc_co_u32_e32 v13, vcc, v16, v13, vcc
	v_addc_co_u32_e32 v12, vcc, 0, v12, vcc
	v_add_co_u32_e32 v11, vcc, v13, v11
	v_addc_co_u32_e32 v12, vcc, 0, v12, vcc
	v_add_co_u32_e32 v11, vcc, v3, v11
	v_addc_co_u32_e32 v12, vcc, v4, v12, vcc
	v_mad_u64_u32 v[3:4], s[0:1], v6, v12, 0
	v_mul_hi_u32 v13, v6, v11
	v_add_co_u32_e32 v13, vcc, v13, v3
	v_addc_co_u32_e32 v14, vcc, 0, v4, vcc
	v_mad_u64_u32 v[3:4], s[0:1], v7, v11, 0
	v_mad_u64_u32 v[11:12], s[0:1], v7, v12, 0
	v_add_co_u32_e32 v3, vcc, v13, v3
	v_addc_co_u32_e32 v3, vcc, v14, v4, vcc
	v_addc_co_u32_e32 v4, vcc, 0, v12, vcc
	v_add_co_u32_e32 v11, vcc, v3, v11
	v_addc_co_u32_e32 v12, vcc, 0, v4, vcc
	v_mul_lo_u32 v13, s29, v11
	v_mul_lo_u32 v14, s28, v12
	v_mad_u64_u32 v[3:4], s[0:1], s28, v11, 0
	v_add3_u32 v4, v4, v14, v13
	v_sub_u32_e32 v13, v7, v4
	v_mov_b32_e32 v14, s29
	v_sub_co_u32_e32 v3, vcc, v6, v3
	v_subb_co_u32_e64 v13, s[0:1], v13, v14, vcc
	v_subrev_co_u32_e64 v14, s[0:1], s28, v3
	v_subbrev_co_u32_e64 v13, s[0:1], 0, v13, s[0:1]
	v_cmp_le_u32_e64 s[0:1], s29, v13
	v_cndmask_b32_e64 v15, 0, -1, s[0:1]
	v_cmp_le_u32_e64 s[0:1], s28, v14
	v_cndmask_b32_e64 v14, 0, -1, s[0:1]
	v_cmp_eq_u32_e64 s[0:1], s29, v13
	v_cndmask_b32_e64 v13, v15, v14, s[0:1]
	v_add_co_u32_e64 v14, s[0:1], 2, v11
	v_addc_co_u32_e64 v15, s[0:1], 0, v12, s[0:1]
	v_add_co_u32_e64 v16, s[0:1], 1, v11
	v_addc_co_u32_e64 v17, s[0:1], 0, v12, s[0:1]
	v_subb_co_u32_e32 v4, vcc, v7, v4, vcc
	v_cmp_ne_u32_e64 s[0:1], 0, v13
	v_cmp_le_u32_e32 vcc, s29, v4
	v_cndmask_b32_e64 v13, v17, v15, s[0:1]
	v_cndmask_b32_e64 v15, 0, -1, vcc
	v_cmp_le_u32_e32 vcc, s28, v3
	v_cndmask_b32_e64 v3, 0, -1, vcc
	v_cmp_eq_u32_e32 vcc, s29, v4
	v_cndmask_b32_e32 v3, v15, v3, vcc
	v_cmp_ne_u32_e32 vcc, 0, v3
	v_cndmask_b32_e64 v3, v16, v14, s[0:1]
	v_cndmask_b32_e32 v4, v12, v13, vcc
	v_cndmask_b32_e32 v3, v11, v3, vcc
.LBB0_4:                                ;   in Loop: Header=BB0_2 Depth=1
	s_andn2_saveexec_b64 s[0:1], s[30:31]
	s_cbranch_execz .LBB0_6
; %bb.5:                                ;   in Loop: Header=BB0_2 Depth=1
	v_cvt_f32_u32_e32 v3, s28
	s_sub_i32 s30, 0, s28
	v_rcp_iflag_f32_e32 v3, v3
	v_mul_f32_e32 v3, 0x4f7ffffe, v3
	v_cvt_u32_f32_e32 v3, v3
	v_mul_lo_u32 v4, s30, v3
	v_mul_hi_u32 v4, v3, v4
	v_add_u32_e32 v3, v3, v4
	v_mul_hi_u32 v3, v6, v3
	v_mul_lo_u32 v4, v3, s28
	v_add_u32_e32 v11, 1, v3
	v_sub_u32_e32 v4, v6, v4
	v_subrev_u32_e32 v12, s28, v4
	v_cmp_le_u32_e32 vcc, s28, v4
	v_cndmask_b32_e32 v4, v4, v12, vcc
	v_cndmask_b32_e32 v3, v3, v11, vcc
	v_add_u32_e32 v11, 1, v3
	v_cmp_le_u32_e32 vcc, s28, v4
	v_cndmask_b32_e32 v3, v3, v11, vcc
	v_mov_b32_e32 v4, v10
.LBB0_6:                                ;   in Loop: Header=BB0_2 Depth=1
	s_or_b64 exec, exec, s[0:1]
	v_mul_lo_u32 v13, v4, s28
	v_mul_lo_u32 v14, v3, s29
	v_mad_u64_u32 v[11:12], s[0:1], v3, s28, 0
	s_load_dwordx2 s[0:1], s[22:23], 0x0
	s_load_dwordx2 s[28:29], s[6:7], 0x0
	v_add3_u32 v12, v12, v14, v13
	v_sub_co_u32_e32 v6, vcc, v6, v11
	v_subb_co_u32_e32 v7, vcc, v7, v12, vcc
	s_waitcnt lgkmcnt(0)
	v_mul_lo_u32 v11, s0, v7
	v_mul_lo_u32 v12, s1, v6
	v_mad_u64_u32 v[8:9], s[0:1], s0, v6, v[8:9]
	v_mul_lo_u32 v7, s28, v7
	v_mul_lo_u32 v13, s29, v6
	v_mad_u64_u32 v[1:2], s[0:1], s28, v6, v[1:2]
	s_add_u32 s26, s26, 1
	s_addc_u32 s27, s27, 0
	s_add_u32 s6, s6, 8
	v_add3_u32 v2, v13, v2, v7
	s_addc_u32 s7, s7, 0
	v_mov_b32_e32 v6, s14
	s_add_u32 s22, s22, 8
	v_mov_b32_e32 v7, s15
	s_addc_u32 s23, s23, 0
	v_cmp_ge_u64_e32 vcc, s[26:27], v[6:7]
	s_add_u32 s24, s24, 8
	v_add3_u32 v9, v12, v9, v11
	s_addc_u32 s25, s25, 0
	s_cbranch_vccnz .LBB0_8
; %bb.7:                                ;   in Loop: Header=BB0_2 Depth=1
	v_mov_b32_e32 v7, v4
	v_mov_b32_e32 v6, v3
	s_branch .LBB0_2
.LBB0_8:
	s_load_dwordx2 s[0:1], s[4:5], 0x28
	s_lshl_b64 s[14:15], s[14:15], 3
	s_add_u32 s4, s18, s14
	s_addc_u32 s5, s19, s15
                                        ; implicit-def: $sgpr18_sgpr19
                                        ; implicit-def: $vgpr124
                                        ; implicit-def: $vgpr125
                                        ; implicit-def: $vgpr126
                                        ; implicit-def: $vgpr127
                                        ; implicit-def: $vgpr128
	s_waitcnt lgkmcnt(0)
	v_cmp_gt_u64_e32 vcc, s[0:1], v[3:4]
	v_cmp_le_u64_e64 s[0:1], s[0:1], v[3:4]
	s_and_saveexec_b64 s[6:7], s[0:1]
	s_xor_b64 s[0:1], exec, s[6:7]
; %bb.9:
	s_mov_b32 s6, 0xf0f0f10
	v_mul_hi_u32 v6, v0, s6
	s_mov_b64 s[18:19], 0
                                        ; implicit-def: $vgpr8_vgpr9
	v_mul_u32_u24_e32 v6, 17, v6
	v_sub_u32_e32 v124, v0, v6
	v_add_u32_e32 v125, 17, v124
	v_add_u32_e32 v126, 34, v124
	;; [unrolled: 1-line block ×4, first 2 shown]
                                        ; implicit-def: $vgpr0
; %bb.10:
	s_or_saveexec_b64 s[6:7], s[0:1]
	v_mov_b32_e32 v91, s19
	v_mov_b32_e32 v121, s19
	;; [unrolled: 1-line block ×40, first 2 shown]
                                        ; implicit-def: $vgpr93
                                        ; implicit-def: $vgpr101
                                        ; implicit-def: $vgpr103
                                        ; implicit-def: $vgpr67
                                        ; implicit-def: $vgpr69
                                        ; implicit-def: $vgpr73
                                        ; implicit-def: $vgpr59
                                        ; implicit-def: $vgpr57
                                        ; implicit-def: $vgpr7
                                        ; implicit-def: $vgpr63
                                        ; implicit-def: $vgpr81
                                        ; implicit-def: $vgpr77
                                        ; implicit-def: $vgpr111
                                        ; implicit-def: $vgpr109
                                        ; implicit-def: $vgpr107
	s_xor_b64 exec, exec, s[6:7]
	s_cbranch_execz .LBB0_12
; %bb.11:
	s_add_u32 s0, s16, s14
	s_mov_b32 s14, 0xf0f0f10
	v_mul_hi_u32 v6, v0, s14
	s_addc_u32 s1, s17, s15
	s_load_dwordx2 s[0:1], s[0:1], 0x0
	v_lshlrev_b64 v[8:9], 3, v[8:9]
	v_mul_u32_u24_e32 v6, 17, v6
	v_sub_u32_e32 v124, v0, v6
	v_mad_u64_u32 v[6:7], s[14:15], s20, v124, 0
	s_waitcnt lgkmcnt(0)
	v_mul_lo_u32 v14, s1, v3
	v_mul_lo_u32 v15, s0, v4
	v_mad_u64_u32 v[10:11], s[0:1], s0, v3, 0
	v_mov_b32_e32 v0, v7
	v_mad_u64_u32 v[12:13], s[0:1], s21, v124, v[0:1]
	v_add3_u32 v11, v11, v15, v14
	v_lshlrev_b64 v[10:11], 3, v[10:11]
	v_mov_b32_e32 v7, v12
	v_mov_b32_e32 v0, s9
	v_add_co_u32_e64 v12, s[0:1], s8, v10
	v_add_u32_e32 v14, 0x55, v124
	v_addc_co_u32_e64 v13, s[0:1], v0, v11, s[0:1]
	v_mad_u64_u32 v[10:11], s[0:1], s20, v14, 0
	v_add_co_u32_e64 v0, s[0:1], v12, v8
	v_mov_b32_e32 v8, v11
	v_addc_co_u32_e64 v16, s[0:1], v13, v9, s[0:1]
	v_mad_u64_u32 v[8:9], s[0:1], s21, v14, v[8:9]
	v_add_u32_e32 v14, 0xaa, v124
	v_mad_u64_u32 v[12:13], s[0:1], s20, v14, 0
	v_lshlrev_b64 v[6:7], 3, v[6:7]
	v_mov_b32_e32 v11, v8
	v_add_co_u32_e64 v6, s[0:1], v0, v6
	v_lshlrev_b64 v[8:9], 3, v[10:11]
	v_mov_b32_e32 v10, v13
	v_addc_co_u32_e64 v7, s[0:1], v16, v7, s[0:1]
	v_mad_u64_u32 v[10:11], s[0:1], s21, v14, v[10:11]
	v_add_u32_e32 v17, 0xff, v124
	v_mad_u64_u32 v[14:15], s[0:1], s20, v17, 0
	v_mov_b32_e32 v13, v10
	v_add_co_u32_e64 v8, s[0:1], v0, v8
	v_lshlrev_b64 v[10:11], 3, v[12:13]
	v_mov_b32_e32 v12, v15
	v_addc_co_u32_e64 v9, s[0:1], v16, v9, s[0:1]
	v_mad_u64_u32 v[12:13], s[0:1], s21, v17, v[12:13]
	v_add_u32_e32 v19, 0x154, v124
	v_mad_u64_u32 v[17:18], s[0:1], s20, v19, 0
	;; [unrolled: 8-line block ×17, first 2 shown]
	v_mov_b32_e32 v46, v43
	v_add_co_u32_e64 v41, s[0:1], v0, v41
	v_lshlrev_b64 v[43:44], 3, v[45:46]
	v_mov_b32_e32 v45, v48
	v_addc_co_u32_e64 v42, s[0:1], v16, v42, s[0:1]
	v_mad_u64_u32 v[45:46], s[0:1], s21, v49, v[45:46]
	v_or_b32_e32 v51, 0x220, v124
	v_mad_u64_u32 v[49:50], s[0:1], s20, v51, 0
	v_mov_b32_e32 v48, v45
	v_add_co_u32_e64 v43, s[0:1], v0, v43
	v_lshlrev_b64 v[45:46], 3, v[47:48]
	v_mov_b32_e32 v47, v50
	v_addc_co_u32_e64 v44, s[0:1], v16, v44, s[0:1]
	v_mad_u64_u32 v[47:48], s[0:1], s21, v51, v[47:48]
	v_add_u32_e32 v127, 51, v124
	v_mad_u64_u32 v[51:52], s[0:1], s20, v127, 0
	v_mov_b32_e32 v50, v47
	v_add_co_u32_e64 v45, s[0:1], v0, v45
	v_lshlrev_b64 v[47:48], 3, v[49:50]
	v_mov_b32_e32 v49, v52
	v_addc_co_u32_e64 v46, s[0:1], v16, v46, s[0:1]
	v_mad_u64_u32 v[49:50], s[0:1], s21, v127, v[49:50]
	v_add_u32_e32 v55, 0x88, v124
	;; [unrolled: 8-line block ×7, first 2 shown]
	v_mad_u64_u32 v[63:64], s[0:1], s20, v60, 0
	v_add_co_u32_e64 v70, s[0:1], v0, v57
	v_mov_b32_e32 v62, v59
	v_mov_b32_e32 v59, v64
	v_addc_co_u32_e64 v71, s[0:1], v16, v58, s[0:1]
	v_mad_u64_u32 v[59:60], s[0:1], s21, v60, v[59:60]
	v_add_u32_e32 v128, 0x44, v124
	v_lshlrev_b64 v[57:58], 3, v[61:62]
	v_mad_u64_u32 v[60:61], s[0:1], s20, v128, 0
	v_add_co_u32_e64 v74, s[0:1], v0, v57
	v_mov_b32_e32 v64, v59
	v_mov_b32_e32 v59, v61
	v_addc_co_u32_e64 v75, s[0:1], v16, v58, s[0:1]
	v_lshlrev_b64 v[57:58], 3, v[63:64]
	v_mad_u64_u32 v[61:62], s[0:1], s21, v128, v[59:60]
	v_add_u32_e32 v64, 0x99, v124
	v_mad_u64_u32 v[62:63], s[0:1], s20, v64, 0
	v_add_co_u32_e64 v129, s[0:1], v0, v57
	v_mov_b32_e32 v59, v63
	v_addc_co_u32_e64 v130, s[0:1], v16, v58, s[0:1]
	v_lshlrev_b64 v[57:58], 3, v[60:61]
	v_mad_u64_u32 v[59:60], s[0:1], s21, v64, v[59:60]
	v_add_u32_e32 v64, 0xee, v124
	v_mad_u64_u32 v[60:61], s[0:1], s20, v64, 0
	v_add_co_u32_e64 v131, s[0:1], v0, v57
	v_mov_b32_e32 v63, v59
	v_mov_b32_e32 v59, v61
	v_addc_co_u32_e64 v132, s[0:1], v16, v58, s[0:1]
	v_lshlrev_b64 v[57:58], 3, v[62:63]
	v_mad_u64_u32 v[61:62], s[0:1], s21, v64, v[59:60]
	v_add_u32_e32 v64, 0x143, v124
	v_mad_u64_u32 v[62:63], s[0:1], s20, v64, 0
	v_add_co_u32_e64 v133, s[0:1], v0, v57
	v_mov_b32_e32 v59, v63
	v_addc_co_u32_e64 v134, s[0:1], v16, v58, s[0:1]
	v_lshlrev_b64 v[57:58], 3, v[60:61]
	v_mad_u64_u32 v[59:60], s[0:1], s21, v64, v[59:60]
	v_add_u32_e32 v64, 0x198, v124
	;; [unrolled: 15-line block ×3, first 2 shown]
	v_mad_u64_u32 v[139:140], s[0:1], s20, v60, 0
	v_add_co_u32_e64 v141, s[0:1], v0, v57
	v_mov_b32_e32 v63, v59
	v_mov_b32_e32 v59, v140
	v_addc_co_u32_e64 v142, s[0:1], v16, v58, s[0:1]
	v_mad_u64_u32 v[59:60], s[0:1], s21, v60, v[59:60]
	v_lshlrev_b64 v[57:58], 3, v[62:63]
	v_add_co_u32_e64 v143, s[0:1], v0, v57
	v_addc_co_u32_e64 v144, s[0:1], v16, v58, s[0:1]
	v_mov_b32_e32 v140, v59
	global_load_dwordx2 v[118:119], v[6:7], off
	global_load_dwordx2 v[90:91], v[8:9], off
	;; [unrolled: 1-line block ×15, first 2 shown]
                                        ; kill: killed $vgpr27 killed $vgpr28
                                        ; kill: killed $vgpr8 killed $vgpr9
                                        ; kill: killed $vgpr17 killed $vgpr18
                                        ; kill: killed $vgpr10 killed $vgpr11
                                        ; kill: killed $vgpr33 killed $vgpr34
                                        ; kill: killed $vgpr12 killed $vgpr13
                                        ; kill: killed $vgpr21 killed $vgpr22
                                        ; kill: killed $vgpr35 killed $vgpr36
                                        ; kill: killed $vgpr29 killed $vgpr30
                                        ; kill: killed $vgpr23 killed $vgpr24
                                        ; kill: killed $vgpr19 killed $vgpr20
                                        ; kill: killed $vgpr31 killed $vgpr32
                                        ; kill: killed $vgpr25 killed $vgpr26
                                        ; kill: killed $vgpr6 killed $vgpr7
                                        ; kill: killed $vgpr14 killed $vgpr15
	global_load_dwordx2 v[94:95], v[37:38], off
	global_load_dwordx2 v[96:97], v[39:40], off
	;; [unrolled: 1-line block ×15, first 2 shown]
                                        ; kill: killed $vgpr41 killed $vgpr42
                                        ; kill: killed $vgpr55 killed $vgpr56
                                        ; kill: killed $vgpr47 killed $vgpr48
                                        ; kill: killed $vgpr129 killed $vgpr130
                                        ; kill: killed $vgpr49 killed $vgpr50
                                        ; kill: killed $vgpr131 killed $vgpr132
                                        ; kill: killed $vgpr43 killed $vgpr44
                                        ; kill: killed $vgpr70 killed $vgpr71
                                        ; kill: killed $vgpr37 killed $vgpr38
                                        ; kill: killed $vgpr51 killed $vgpr52
                                        ; kill: killed $vgpr133 killed $vgpr134
                                        ; kill: killed $vgpr45 killed $vgpr46
                                        ; kill: killed $vgpr74 killed $vgpr75
                                        ; kill: killed $vgpr39 killed $vgpr40
                                        ; kill: killed $vgpr53 killed $vgpr54
	s_nop 0
	global_load_dwordx2 v[70:71], v[135:136], off
	global_load_dwordx2 v[62:63], v[137:138], off
	v_lshlrev_b64 v[6:7], 3, v[139:140]
	v_add_co_u32_e64 v8, s[0:1], v0, v6
	v_addc_co_u32_e64 v9, s[0:1], v16, v7, s[0:1]
	global_load_dwordx2 v[74:75], v[141:142], off
	global_load_dwordx2 v[6:7], v[143:144], off
	;; [unrolled: 1-line block ×3, first 2 shown]
.LBB0_12:
	s_or_b64 exec, exec, s[6:7]
	s_mov_b32 s0, 0xaaaaaaab
	v_mul_hi_u32 v0, v5, s0
	s_waitcnt vmcnt(28)
	v_add_f32_e32 v8, v102, v90
	v_add_f32_e32 v11, v92, v122
	v_sub_f32_e32 v9, v91, v103
	v_lshrrev_b32_e32 v0, 1, v0
	v_lshl_add_u32 v0, v0, 1, v0
	v_sub_u32_e32 v0, v5, v0
	v_add_f32_e32 v5, v100, v120
	v_add_f32_e32 v13, v8, v5
	v_sub_f32_e32 v10, v121, v101
	v_sub_f32_e32 v12, v123, v93
	;; [unrolled: 1-line block ×5, first 2 shown]
	v_add_f32_e32 v11, v13, v11
	v_add_f32_e32 v15, v10, v12
	v_sub_f32_e32 v16, v12, v10
	v_sub_f32_e32 v10, v10, v9
	v_add_f32_e32 v13, v11, v118
	v_sub_f32_e32 v12, v9, v12
	v_add_f32_e32 v9, v9, v15
	v_mul_f32_e32 v15, 0x3f4a47b2, v8
	v_mul_f32_e32 v5, 0x3d64c772, v5
	;; [unrolled: 1-line block ×3, first 2 shown]
	s_mov_b32 s8, 0x3f5ff5aa
	v_mul_f32_e32 v17, 0x3f5ff5aa, v10
	v_mov_b32_e32 v18, v13
	s_mov_b32 s9, 0x3f3bfb3b
	s_mov_b32 s14, 0xbf3bfb3b
	;; [unrolled: 1-line block ×3, first 2 shown]
	v_fmac_f32_e32 v18, 0xbf955555, v11
	v_fma_f32 v11, v14, s9, -v5
	v_fmac_f32_e32 v5, 0x3f4a47b2, v8
	v_fma_f32 v8, v14, s14, -v15
	v_fma_f32 v10, v10, s8, -v16
	v_fmac_f32_e32 v16, 0x3eae86e6, v12
	v_fma_f32 v12, v12, s15, -v17
	v_add_f32_e32 v5, v5, v18
	v_add_f32_e32 v11, v11, v18
	v_add_f32_e32 v8, v8, v18
	v_fmac_f32_e32 v16, 0x3ee1c552, v9
	v_fmac_f32_e32 v10, 0x3ee1c552, v9
	v_fmac_f32_e32 v12, 0x3ee1c552, v9
	v_add_f32_e32 v9, v5, v16
	v_add_f32_e32 v14, v8, v12
	v_sub_f32_e32 v15, v11, v10
	v_add_f32_e32 v10, v11, v10
	v_sub_f32_e32 v11, v8, v12
	v_sub_f32_e32 v5, v5, v16
	s_waitcnt vmcnt(21)
	v_add_f32_e32 v8, v110, v112
	v_add_f32_e32 v16, v108, v114
	v_add_f32_e32 v18, v106, v116
	v_add_f32_e32 v20, v8, v16
	v_sub_f32_e32 v12, v113, v111
	v_sub_f32_e32 v17, v115, v109
	v_sub_f32_e32 v19, v117, v107
	v_sub_f32_e32 v21, v16, v8
	v_sub_f32_e32 v8, v8, v18
	v_sub_f32_e32 v16, v18, v16
	v_add_f32_e32 v18, v20, v18
	v_add_f32_e32 v22, v17, v19
	v_sub_f32_e32 v23, v19, v17
	v_sub_f32_e32 v17, v17, v12
	v_add_f32_e32 v20, v18, v104
	v_sub_f32_e32 v19, v12, v19
	v_add_f32_e32 v12, v12, v22
	v_mul_f32_e32 v22, 0x3f4a47b2, v8
	v_mul_f32_e32 v16, 0x3d64c772, v16
	v_mul_f32_e32 v23, 0xbf08b237, v23
	v_mul_f32_e32 v24, 0x3f5ff5aa, v17
	v_mov_b32_e32 v25, v20
	v_fmac_f32_e32 v25, 0xbf955555, v18
	v_fma_f32 v18, v21, s9, -v16
	v_fmac_f32_e32 v16, 0x3f4a47b2, v8
	v_fma_f32 v8, v21, s14, -v22
	v_fma_f32 v17, v17, s8, -v23
	v_fmac_f32_e32 v23, 0x3eae86e6, v19
	v_fma_f32 v19, v19, s15, -v24
	v_add_f32_e32 v16, v16, v25
	v_add_f32_e32 v18, v18, v25
	v_add_f32_e32 v8, v8, v25
	v_fmac_f32_e32 v23, 0x3ee1c552, v12
	v_fmac_f32_e32 v17, 0x3ee1c552, v12
	v_fmac_f32_e32 v19, 0x3ee1c552, v12
	v_add_f32_e32 v12, v16, v23
	v_add_f32_e32 v21, v8, v19
	v_sub_f32_e32 v22, v18, v17
	v_add_f32_e32 v17, v18, v17
	v_sub_f32_e32 v18, v8, v19
	v_sub_f32_e32 v16, v16, v23
	s_waitcnt vmcnt(14)
	v_add_f32_e32 v8, v72, v94
	v_add_f32_e32 v23, v68, v96
	v_add_f32_e32 v25, v66, v98
	v_add_f32_e32 v27, v8, v23
	v_sub_f32_e32 v19, v95, v73
	v_sub_f32_e32 v24, v97, v69
	v_sub_f32_e32 v26, v99, v67
	v_sub_f32_e32 v28, v23, v8
	v_sub_f32_e32 v8, v8, v25
	v_sub_f32_e32 v23, v25, v23
	v_add_f32_e32 v25, v27, v25
	v_add_f32_e32 v29, v24, v26
	v_sub_f32_e32 v30, v26, v24
	v_sub_f32_e32 v24, v24, v19
	v_add_f32_e32 v27, v25, v88
	v_sub_f32_e32 v26, v19, v26
	v_add_f32_e32 v19, v19, v29
	v_mul_f32_e32 v29, 0x3f4a47b2, v8
	v_mul_f32_e32 v23, 0x3d64c772, v23
	v_mul_f32_e32 v30, 0xbf08b237, v30
	v_mul_f32_e32 v31, 0x3f5ff5aa, v24
	v_mov_b32_e32 v32, v27
	;; [unrolled: 42-line block ×3, first 2 shown]
	v_fmac_f32_e32 v39, 0xbf955555, v32
	v_fma_f32 v32, v35, s9, -v30
	v_fmac_f32_e32 v30, 0x3f4a47b2, v8
	v_fma_f32 v8, v35, s14, -v36
	v_fma_f32 v31, v31, s8, -v37
	v_fmac_f32_e32 v37, 0x3eae86e6, v33
	v_fma_f32 v33, v33, s15, -v38
	v_add_f32_e32 v30, v30, v39
	v_add_f32_e32 v32, v32, v39
	;; [unrolled: 1-line block ×3, first 2 shown]
	v_fmac_f32_e32 v37, 0x3ee1c552, v26
	v_fmac_f32_e32 v31, 0x3ee1c552, v26
	;; [unrolled: 1-line block ×3, first 2 shown]
	v_add_f32_e32 v26, v30, v37
	v_add_f32_e32 v35, v8, v33
	v_sub_f32_e32 v36, v32, v31
	v_add_f32_e32 v31, v32, v31
	v_sub_f32_e32 v32, v8, v33
	v_sub_f32_e32 v30, v30, v37
	s_waitcnt vmcnt(0)
	v_add_f32_e32 v8, v56, v64
	v_add_f32_e32 v37, v6, v70
	v_mul_u32_u24_e32 v0, 0x253, v0
	v_add_f32_e32 v39, v62, v74
	v_add_f32_e32 v41, v8, v37
	v_sub_f32_e32 v33, v65, v57
	v_sub_f32_e32 v38, v71, v7
	;; [unrolled: 1-line block ×6, first 2 shown]
	v_add_f32_e32 v39, v41, v39
	v_lshlrev_b32_e32 v129, 2, v0
	v_add_f32_e32 v43, v38, v40
	v_sub_f32_e32 v44, v40, v38
	v_sub_f32_e32 v38, v38, v33
	v_add_f32_e32 v41, v39, v60
	v_add_u32_e32 v130, 0, v129
	v_sub_f32_e32 v40, v33, v40
	v_add_f32_e32 v33, v33, v43
	v_mul_f32_e32 v43, 0x3f4a47b2, v8
	v_mul_f32_e32 v37, 0x3d64c772, v37
	;; [unrolled: 1-line block ×4, first 2 shown]
	v_mov_b32_e32 v46, v41
	v_mad_u32_u24 v60, v124, 28, v130
	s_load_dwordx2 s[4:5], s[4:5], 0x0
	v_fmac_f32_e32 v46, 0xbf955555, v39
	v_fma_f32 v39, v42, s9, -v37
	v_fmac_f32_e32 v37, 0x3f4a47b2, v8
	v_fma_f32 v8, v42, s14, -v43
	v_fma_f32 v38, v38, s8, -v44
	v_fmac_f32_e32 v44, 0x3eae86e6, v40
	v_fma_f32 v40, v40, s15, -v45
	ds_write2_b32 v60, v13, v9 offset1:1
	ds_write2_b32 v60, v14, v15 offset0:2 offset1:3
	ds_write2_b32 v60, v10, v11 offset0:4 offset1:5
	ds_write_b32 v60, v5 offset:24
	v_lshlrev_b32_e32 v5, 2, v124
	v_add_f32_e32 v37, v37, v46
	v_add_f32_e32 v39, v39, v46
	;; [unrolled: 1-line block ×3, first 2 shown]
	v_fmac_f32_e32 v44, 0x3ee1c552, v33
	v_fmac_f32_e32 v38, 0x3ee1c552, v33
	;; [unrolled: 1-line block ×3, first 2 shown]
	v_add3_u32 v104, 0, v5, v129
	v_add_f32_e32 v33, v37, v44
	v_add_f32_e32 v42, v8, v40
	v_sub_f32_e32 v43, v39, v38
	v_add_f32_e32 v38, v39, v38
	v_sub_f32_e32 v39, v8, v40
	v_mad_i32_i24 v78, v125, 28, v130
	v_mad_i32_i24 v88, v126, 28, v130
	;; [unrolled: 1-line block ×4, first 2 shown]
	v_add_u32_e32 v0, v130, v5
	v_add_u32_e32 v134, 0x200, v104
	;; [unrolled: 1-line block ×3, first 2 shown]
	v_sub_f32_e32 v8, v37, v44
	ds_write2_b32 v78, v20, v12 offset1:1
	ds_write2_b32 v78, v21, v22 offset0:2 offset1:3
	ds_write2_b32 v78, v17, v18 offset0:4 offset1:5
	ds_write_b32 v78, v16 offset:24
	ds_write2_b32 v88, v27, v19 offset1:1
	ds_write2_b32 v88, v28, v29 offset0:2 offset1:3
	ds_write2_b32 v88, v24, v25 offset0:4 offset1:5
	ds_write_b32 v88, v23 offset:24
	;; [unrolled: 4-line block ×4, first 2 shown]
	s_waitcnt lgkmcnt(0)
	; wave barrier
	s_waitcnt lgkmcnt(0)
	ds_read2_b32 v[54:55], v104 offset0:35 offset1:52
	ds_read2_b32 v[52:53], v104 offset0:70 offset1:87
	;; [unrolled: 1-line block ×11, first 2 shown]
	v_add_u32_e32 v135, 0x800, v104
	v_lshl_add_u32 v118, v125, 2, v130
	ds_read_b32 v141, v0
	ds_read_b32 v136, v118
	ds_read2_b32 v[44:45], v133 offset0:164 offset1:181
	ds_read2_b32 v[40:41], v133 offset0:199 offset1:216
	;; [unrolled: 1-line block ×5, first 2 shown]
	v_cmp_eq_u32_e64 s[0:1], 0, v124
                                        ; implicit-def: $vgpr142
                                        ; implicit-def: $vgpr24
                                        ; implicit-def: $vgpr20
                                        ; implicit-def: $vgpr18
                                        ; implicit-def: $vgpr16
                                        ; implicit-def: $vgpr11
                                        ; implicit-def: $vgpr13
                                        ; implicit-def: $vgpr15
	s_and_saveexec_b64 s[6:7], s[0:1]
	s_cbranch_execz .LBB0_14
; %bb.13:
	v_add_u32_e32 v10, 0x200, v130
	ds_read2_b32 v[8:9], v130 offset0:34 offset1:69
	ds_read2_b32 v[24:25], v130 offset0:104 offset1:139
	;; [unrolled: 1-line block ×4, first 2 shown]
	v_add_u32_e32 v10, 0x400, v130
	ds_read2_b32 v[16:17], v10 offset0:58 offset1:93
	ds_read2_b32 v[14:15], v10 offset0:128 offset1:163
	;; [unrolled: 1-line block ×3, first 2 shown]
	v_add_u32_e32 v10, 0x800, v130
	ds_read2_b32 v[10:11], v10 offset0:12 offset1:47
	ds_read_b32 v142, v130 offset:2376
.LBB0_14:
	s_or_b64 exec, exec, s[6:7]
	v_add_f32_e32 v91, v103, v91
	v_add_f32_e32 v101, v101, v121
	;; [unrolled: 1-line block ×4, first 2 shown]
	v_sub_f32_e32 v90, v90, v102
	v_add_f32_e32 v93, v93, v123
	v_add_f32_e32 v102, v91, v101
	v_sub_f32_e32 v72, v94, v72
	v_add_f32_e32 v67, v67, v99
	v_add_f32_e32 v94, v73, v69
	v_sub_f32_e32 v100, v120, v100
	v_sub_f32_e32 v92, v122, v92
	v_sub_f32_e32 v103, v101, v91
	v_sub_f32_e32 v91, v91, v93
	v_sub_f32_e32 v101, v93, v101
	v_add_f32_e32 v93, v102, v93
	v_sub_f32_e32 v68, v96, v68
	v_sub_f32_e32 v66, v98, v66
	;; [unrolled: 1-line block ×5, first 2 shown]
	v_add_f32_e32 v67, v94, v67
	v_add_f32_e32 v120, v100, v92
	v_sub_f32_e32 v121, v92, v100
	v_add_f32_e32 v102, v93, v119
	v_add_f32_e32 v96, v68, v66
	v_sub_f32_e32 v97, v66, v68
	v_add_f32_e32 v89, v67, v89
	v_sub_f32_e32 v92, v90, v92
	v_sub_f32_e32 v100, v100, v90
	v_add_f32_e32 v90, v90, v120
	v_mul_f32_e32 v101, 0x3d64c772, v101
	v_mul_f32_e32 v120, 0xbf08b237, v121
	v_mov_b32_e32 v122, v102
	v_sub_f32_e32 v66, v72, v66
	v_sub_f32_e32 v68, v68, v72
	v_add_f32_e32 v72, v72, v96
	v_mul_f32_e32 v69, 0x3d64c772, v69
	v_mul_f32_e32 v96, 0xbf08b237, v97
	v_mov_b32_e32 v98, v89
	v_mul_f32_e32 v119, 0x3f4a47b2, v91
	v_mul_f32_e32 v121, 0x3f5ff5aa, v100
	v_fmac_f32_e32 v122, 0xbf955555, v93
	v_fma_f32 v93, v103, s9, -v101
	v_fma_f32 v100, v100, s8, -v120
	v_mul_f32_e32 v94, 0x3f4a47b2, v73
	v_mul_f32_e32 v97, 0x3f5ff5aa, v68
	v_fmac_f32_e32 v98, 0xbf955555, v67
	v_fma_f32 v67, v95, s9, -v69
	v_fmac_f32_e32 v69, 0x3f4a47b2, v73
	v_fma_f32 v68, v68, s8, -v96
	v_fmac_f32_e32 v96, 0x3eae86e6, v66
	v_fmac_f32_e32 v101, 0x3f4a47b2, v91
	v_fma_f32 v91, v103, s14, -v119
	v_fmac_f32_e32 v120, 0x3eae86e6, v92
	v_fma_f32 v92, v92, s15, -v121
	v_add_f32_e32 v93, v93, v122
	v_fmac_f32_e32 v100, 0x3ee1c552, v90
	v_fma_f32 v73, v95, s14, -v94
	v_fma_f32 v66, v66, s15, -v97
	v_add_f32_e32 v69, v69, v98
	v_add_f32_e32 v67, v67, v98
	v_fmac_f32_e32 v96, 0x3ee1c552, v72
	v_fmac_f32_e32 v68, 0x3ee1c552, v72
	v_add_f32_e32 v101, v101, v122
	v_add_f32_e32 v91, v91, v122
	v_fmac_f32_e32 v120, 0x3ee1c552, v90
	v_fmac_f32_e32 v92, 0x3ee1c552, v90
	v_add_f32_e32 v119, v100, v93
	v_sub_f32_e32 v93, v93, v100
	v_add_f32_e32 v100, v111, v113
	v_add_f32_e32 v109, v109, v115
	;; [unrolled: 1-line block ×3, first 2 shown]
	v_fmac_f32_e32 v66, 0x3ee1c552, v72
	v_sub_f32_e32 v72, v69, v96
	v_add_f32_e32 v95, v68, v67
	v_sub_f32_e32 v67, v67, v68
	v_add_f32_e32 v68, v96, v69
	v_add_f32_e32 v69, v81, v83
	;; [unrolled: 1-line block ×3, first 2 shown]
	v_sub_f32_e32 v90, v101, v120
	v_sub_f32_e32 v103, v91, v92
	v_add_f32_e32 v91, v92, v91
	v_add_f32_e32 v92, v120, v101
	v_sub_f32_e32 v101, v112, v110
	v_add_f32_e32 v107, v107, v117
	v_add_f32_e32 v110, v100, v109
	v_sub_f32_e32 v94, v73, v66
	v_add_f32_e32 v66, v66, v73
	v_sub_f32_e32 v73, v82, v80
	v_add_f32_e32 v59, v59, v87
	v_add_f32_e32 v80, v69, v77
	;; [unrolled: 1-line block ×4, first 2 shown]
	v_sub_f32_e32 v108, v114, v108
	v_sub_f32_e32 v106, v116, v106
	v_sub_f32_e32 v111, v109, v100
	v_sub_f32_e32 v100, v100, v107
	v_sub_f32_e32 v109, v107, v109
	v_add_f32_e32 v107, v110, v107
	v_sub_f32_e32 v76, v84, v76
	v_sub_f32_e32 v58, v86, v58
	;; [unrolled: 1-line block ×5, first 2 shown]
	v_add_f32_e32 v59, v80, v59
	v_sub_f32_e32 v56, v64, v56
	v_add_f32_e32 v63, v63, v75
	v_add_f32_e32 v64, v57, v7
	;; [unrolled: 1-line block ×3, first 2 shown]
	v_sub_f32_e32 v113, v106, v108
	v_sub_f32_e32 v108, v108, v101
	v_add_f32_e32 v105, v107, v105
	v_add_f32_e32 v82, v76, v58
	v_sub_f32_e32 v83, v58, v76
	v_sub_f32_e32 v76, v76, v73
	v_add_f32_e32 v79, v59, v79
	v_sub_f32_e32 v6, v70, v6
	v_sub_f32_e32 v62, v74, v62
	;; [unrolled: 1-line block ×5, first 2 shown]
	v_add_f32_e32 v63, v64, v63
	v_sub_f32_e32 v106, v101, v106
	v_add_f32_e32 v101, v101, v112
	v_mul_f32_e32 v110, 0x3f4a47b2, v100
	v_mul_f32_e32 v109, 0x3d64c772, v109
	;; [unrolled: 1-line block ×4, first 2 shown]
	v_mov_b32_e32 v114, v105
	v_sub_f32_e32 v58, v73, v58
	v_add_f32_e32 v73, v73, v82
	v_mul_f32_e32 v80, 0x3f4a47b2, v69
	v_mul_f32_e32 v77, 0x3d64c772, v77
	v_mul_f32_e32 v82, 0xbf08b237, v83
	v_mul_f32_e32 v83, 0x3f5ff5aa, v76
	v_mov_b32_e32 v84, v79
	v_add_f32_e32 v70, v6, v62
	v_sub_f32_e32 v71, v62, v6
	v_sub_f32_e32 v6, v6, v56
	v_add_f32_e32 v61, v63, v61
	v_fmac_f32_e32 v114, 0xbf955555, v107
	v_fma_f32 v107, v111, s9, -v109
	v_fmac_f32_e32 v109, 0x3f4a47b2, v100
	v_fma_f32 v100, v111, s14, -v110
	v_fma_f32 v108, v108, s8, -v112
	v_fmac_f32_e32 v112, 0x3eae86e6, v106
	v_fma_f32 v106, v106, s15, -v113
	v_fmac_f32_e32 v84, 0xbf955555, v59
	;; [unrolled: 2-line block ×3, first 2 shown]
	v_fma_f32 v69, v81, s14, -v80
	v_fma_f32 v76, v76, s8, -v82
	v_fmac_f32_e32 v82, 0x3eae86e6, v58
	v_fma_f32 v58, v58, s15, -v83
	v_sub_f32_e32 v62, v56, v62
	v_add_f32_e32 v56, v56, v70
	v_mul_f32_e32 v64, 0x3f4a47b2, v57
	v_mul_f32_e32 v7, 0x3d64c772, v7
	;; [unrolled: 1-line block ×4, first 2 shown]
	v_mov_b32_e32 v74, v61
	v_add_f32_e32 v109, v109, v114
	v_add_f32_e32 v100, v100, v114
	v_fmac_f32_e32 v112, 0x3ee1c552, v101
	v_fmac_f32_e32 v106, 0x3ee1c552, v101
	v_add_f32_e32 v77, v77, v84
	v_add_f32_e32 v59, v59, v84
	v_add_f32_e32 v69, v69, v84
	v_fmac_f32_e32 v82, 0x3ee1c552, v73
	v_fmac_f32_e32 v76, 0x3ee1c552, v73
	;; [unrolled: 1-line block ×4, first 2 shown]
	v_fma_f32 v63, v65, s9, -v7
	v_fmac_f32_e32 v7, 0x3f4a47b2, v57
	v_fma_f32 v57, v65, s14, -v64
	v_fma_f32 v6, v6, s8, -v70
	v_fmac_f32_e32 v70, 0x3eae86e6, v62
	v_fma_f32 v62, v62, s15, -v71
	v_add_f32_e32 v107, v107, v114
	v_fmac_f32_e32 v108, 0x3ee1c552, v101
	v_sub_f32_e32 v101, v109, v112
	v_sub_f32_e32 v110, v100, v106
	v_add_f32_e32 v100, v106, v100
	v_sub_f32_e32 v73, v77, v82
	v_sub_f32_e32 v80, v69, v58
	v_add_f32_e32 v81, v76, v59
	v_add_f32_e32 v7, v7, v74
	;; [unrolled: 1-line block ×4, first 2 shown]
	v_fmac_f32_e32 v70, 0x3ee1c552, v56
	v_fmac_f32_e32 v6, 0x3ee1c552, v56
	;; [unrolled: 1-line block ×3, first 2 shown]
	v_add_f32_e32 v111, v108, v107
	v_sub_f32_e32 v107, v107, v108
	v_add_f32_e32 v106, v112, v109
	v_sub_f32_e32 v59, v59, v76
	v_add_f32_e32 v58, v58, v69
	v_add_f32_e32 v69, v82, v77
	v_sub_f32_e32 v56, v7, v70
	v_sub_f32_e32 v64, v57, v62
	v_add_f32_e32 v65, v6, v63
	v_sub_f32_e32 v63, v63, v6
	v_add_f32_e32 v57, v62, v57
	v_add_f32_e32 v6, v70, v7
	s_waitcnt lgkmcnt(0)
	; wave barrier
	s_waitcnt lgkmcnt(0)
	ds_write2_b32 v60, v102, v90 offset1:1
	ds_write2_b32 v60, v103, v119 offset0:2 offset1:3
	ds_write2_b32 v60, v93, v91 offset0:4 offset1:5
	ds_write_b32 v60, v92 offset:24
	ds_write2_b32 v78, v105, v101 offset1:1
	ds_write2_b32 v78, v110, v111 offset0:2 offset1:3
	ds_write2_b32 v78, v107, v100 offset0:4 offset1:5
	ds_write_b32 v78, v106 offset:24
	;; [unrolled: 4-line block ×5, first 2 shown]
	s_waitcnt lgkmcnt(0)
	; wave barrier
	s_waitcnt lgkmcnt(0)
	ds_read2_b32 v[100:101], v104 offset0:35 offset1:52
	ds_read2_b32 v[98:99], v104 offset0:70 offset1:87
	ds_read2_b32 v[96:97], v104 offset0:105 offset1:122
	ds_read2_b32 v[94:95], v104 offset0:140 offset1:157
	ds_read2_b32 v[92:93], v104 offset0:175 offset1:192
	ds_read2_b32 v[90:91], v104 offset0:210 offset1:227
	ds_read2_b32 v[88:89], v134 offset0:117 offset1:134
	ds_read2_b32 v[86:87], v133 offset0:24 offset1:41
	ds_read2_b32 v[84:85], v133 offset0:59 offset1:76
	ds_read2_b32 v[82:83], v133 offset0:94 offset1:111
	ds_read2_b32 v[80:81], v133 offset0:129 offset1:146
	ds_read2_b32 v[78:79], v133 offset0:164 offset1:181
	ds_read2_b32 v[76:77], v133 offset0:199 offset1:216
	ds_read2_b32 v[74:75], v133 offset0:234 offset1:251
	ds_read2_b32 v[72:73], v135 offset0:13 offset1:30
	ds_read2_b32 v[70:71], v135 offset0:48 offset1:65
	ds_read_b32 v103, v0
	ds_read_b32 v102, v118
                                        ; implicit-def: $vgpr68
                                        ; implicit-def: $vgpr66
                                        ; implicit-def: $vgpr64
                                        ; implicit-def: $vgpr62
                                        ; implicit-def: $vgpr143
                                        ; implicit-def: $vgpr57
                                        ; implicit-def: $vgpr59
                                        ; implicit-def: $vgpr61
	s_and_saveexec_b64 s[6:7], s[0:1]
	s_cbranch_execz .LBB0_16
; %bb.15:
	v_add_u32_e32 v56, 0x200, v130
	ds_read2_b32 v[6:7], v130 offset0:34 offset1:69
	ds_read2_b32 v[68:69], v130 offset0:104 offset1:139
	;; [unrolled: 1-line block ×4, first 2 shown]
	v_add_u32_e32 v56, 0x400, v130
	ds_read2_b32 v[62:63], v56 offset0:58 offset1:93
	ds_read2_b32 v[60:61], v56 offset0:128 offset1:163
	;; [unrolled: 1-line block ×3, first 2 shown]
	v_add_u32_e32 v56, 0x800, v130
	ds_read2_b32 v[56:57], v56 offset0:12 offset1:47
	ds_read_b32 v143, v130 offset:2376
.LBB0_16:
	s_or_b64 exec, exec, s[6:7]
	v_mov_b32_e32 v105, 37
	v_mul_lo_u16_sdwa v106, v124, v105 dst_sel:DWORD dst_unused:UNUSED_PAD src0_sel:BYTE_0 src1_sel:DWORD
	v_sub_u16_sdwa v107, v124, v106 dst_sel:DWORD dst_unused:UNUSED_PAD src0_sel:DWORD src1_sel:BYTE_1
	v_lshrrev_b16_e32 v107, 1, v107
	v_and_b32_e32 v107, 0x7f, v107
	v_add_u16_sdwa v106, v107, v106 dst_sel:DWORD dst_unused:UNUSED_PAD src0_sel:DWORD src1_sel:BYTE_1
	v_lshrrev_b16_e32 v137, 2, v106
	v_mul_lo_u16_e32 v106, 7, v137
	v_sub_u16_e32 v138, v124, v106
	v_mov_b32_e32 v131, 7
	v_lshlrev_b32_sdwa v106, v131, v138 dst_sel:DWORD dst_unused:UNUSED_PAD src0_sel:DWORD src1_sel:BYTE_0
	global_load_dwordx4 v[120:123], v106, s[12:13]
	global_load_dwordx4 v[132:135], v106, s[12:13] offset:16
	global_load_dwordx4 v[144:147], v106, s[12:13] offset:32
	;; [unrolled: 1-line block ×7, first 2 shown]
	v_mul_lo_u16_sdwa v106, v125, v105 dst_sel:DWORD dst_unused:UNUSED_PAD src0_sel:BYTE_0 src1_sel:DWORD
	v_mul_lo_u16_sdwa v200, v126, v105 dst_sel:DWORD dst_unused:UNUSED_PAD src0_sel:BYTE_0 src1_sel:DWORD
	v_sub_u16_sdwa v105, v125, v106 dst_sel:DWORD dst_unused:UNUSED_PAD src0_sel:DWORD src1_sel:BYTE_1
	v_lshrrev_b16_e32 v105, 1, v105
	v_and_b32_e32 v105, 0x7f, v105
	v_add_u16_sdwa v105, v105, v106 dst_sel:DWORD dst_unused:UNUSED_PAD src0_sel:DWORD src1_sel:BYTE_1
	v_lshrrev_b16_e32 v139, 2, v105
	v_mul_lo_u16_e32 v105, 7, v139
	v_sub_u16_e32 v140, v125, v105
	v_lshlrev_b32_sdwa v105, v131, v140 dst_sel:DWORD dst_unused:UNUSED_PAD src0_sel:DWORD src1_sel:BYTE_0
	global_load_dwordx4 v[168:171], v105, s[12:13] offset:16
	global_load_dwordx4 v[172:175], v105, s[12:13]
	global_load_dwordx4 v[176:179], v105, s[12:13] offset:48
	global_load_dwordx4 v[180:183], v105, s[12:13] offset:32
	;; [unrolled: 1-line block ×6, first 2 shown]
	s_mov_b32 s19, 0xbf7ba420
	s_mov_b32 s16, 0x3f6eb680
	;; [unrolled: 1-line block ×8, first 2 shown]
	s_movk_i32 s6, 0x1dc
	s_waitcnt vmcnt(15) lgkmcnt(14)
	v_mul_f32_e32 v115, v100, v121
	s_waitcnt vmcnt(14)
	v_mul_f32_e32 v117, v50, v133
	v_mul_f32_e32 v202, v94, v135
	;; [unrolled: 1-line block ×3, first 2 shown]
	s_waitcnt vmcnt(13) lgkmcnt(13)
	v_mul_f32_e32 v135, v92, v145
	v_mul_f32_e32 v111, v46, v145
	s_waitcnt lgkmcnt(12)
	v_mul_f32_e32 v145, v90, v147
	v_mul_f32_e32 v109, v42, v147
	s_waitcnt vmcnt(12) lgkmcnt(11)
	v_mul_f32_e32 v147, v88, v149
	v_mul_f32_e32 v107, v38, v149
	s_waitcnt lgkmcnt(10)
	v_mul_f32_e32 v149, v86, v151
	v_mul_f32_e32 v105, v34, v151
	;; [unrolled: 6-line block ×3, first 2 shown]
	s_waitcnt vmcnt(10) lgkmcnt(7)
	v_mul_f32_e32 v155, v80, v157
	v_mul_f32_e32 v201, v96, v133
	;; [unrolled: 1-line block ×3, first 2 shown]
	v_fmac_f32_e32 v117, v96, v132
	v_fma_f32 v96, v22, v156, -v155
	v_sub_u16_sdwa v22, v126, v200 dst_sel:DWORD dst_unused:UNUSED_PAD src0_sel:DWORD src1_sel:BYTE_1
	v_lshrrev_b16_e32 v22, 1, v22
	v_and_b32_e32 v22, 0x7f, v22
	v_add_u16_sdwa v22, v22, v200 dst_sel:DWORD dst_unused:UNUSED_PAD src0_sel:DWORD src1_sel:BYTE_1
	v_lshrrev_b16_e32 v22, 2, v22
	v_mul_lo_u16_e32 v22, 7, v22
	v_fmac_f32_e32 v107, v88, v148
	v_fma_f32 v88, v34, v150, -v149
	v_sub_u16_e32 v34, v126, v22
	v_mul_f32_e32 v130, v54, v121
	v_mul_f32_e32 v121, v52, v123
	v_fmac_f32_e32 v105, v86, v150
	v_fma_f32 v86, v30, v152, -v151
	v_lshlrev_b32_sdwa v30, v131, v34 dst_sel:DWORD dst_unused:UNUSED_PAD src0_sel:DWORD src1_sel:BYTE_0
	v_mul_f32_e32 v116, v98, v123
	v_fmac_f32_e32 v121, v98, v122
	v_fmac_f32_e32 v113, v94, v134
	v_fma_f32 v98, v46, v144, -v135
	v_fmac_f32_e32 v111, v92, v144
	v_fma_f32 v94, v42, v146, -v145
	;; [unrolled: 2-line block ×3, first 2 shown]
	global_load_dwordx4 v[144:147], v30, s[12:13] offset:16
	global_load_dwordx4 v[148:151], v30, s[12:13]
	s_waitcnt lgkmcnt(6)
	v_mul_f32_e32 v157, v78, v159
	v_mul_f32_e32 v112, v44, v159
	s_waitcnt vmcnt(11) lgkmcnt(5)
	v_mul_f32_e32 v159, v76, v161
	v_fmac_f32_e32 v130, v100, v120
	v_fma_f32 v123, v52, v122, -v116
	v_fmac_f32_e32 v106, v84, v152
	v_fma_f32 v92, v26, v154, -v153
	v_fmac_f32_e32 v108, v82, v154
	v_fmac_f32_e32 v110, v80, v156
	v_fma_f32 v100, v44, v158, -v157
	v_fmac_f32_e32 v112, v78, v158
	v_fma_f32 v116, v40, v160, -v159
	global_load_dwordx4 v[152:155], v30, s[12:13] offset:48
	global_load_dwordx4 v[156:159], v30, s[12:13] offset:32
	s_waitcnt vmcnt(12) lgkmcnt(3)
	v_mul_f32_e32 v22, v72, v165
	v_mul_f32_e32 v114, v40, v161
	;; [unrolled: 1-line block ×4, first 2 shown]
	v_fma_f32 v133, v54, v120, -v115
	v_fma_f32 v120, v50, v132, -v201
	v_fma_f32 v131, v32, v164, -v22
	v_mul_f32_e32 v132, v32, v165
	s_waitcnt lgkmcnt(2)
	v_mul_f32_e32 v22, v70, v167
	v_mul_f32_e32 v135, v28, v167
	v_fma_f32 v115, v48, v134, -v202
	v_fmac_f32_e32 v114, v76, v160
	v_fma_f32 v122, v36, v162, -v161
	v_fmac_f32_e32 v119, v74, v162
	v_fmac_f32_e32 v132, v72, v164
	v_fma_f32 v134, v28, v166, -v22
	v_fmac_f32_e32 v135, v70, v166
	global_load_dwordx4 v[160:163], v30, s[12:13] offset:80
	global_load_dwordx4 v[164:167], v30, s[12:13] offset:64
	s_waitcnt vmcnt(12)
	v_mul_f32_e32 v22, v101, v173
	v_fma_f32 v82, v55, v172, -v22
	v_mul_f32_e32 v22, v99, v175
	v_fma_f32 v78, v53, v174, -v22
	;; [unrolled: 2-line block ×4, first 2 shown]
	s_waitcnt vmcnt(10)
	v_mul_f32_e32 v22, v93, v181
	v_fma_f32 v44, v47, v180, -v22
	v_mul_f32_e32 v22, v91, v183
	v_fma_f32 v40, v43, v182, -v22
	;; [unrolled: 2-line block ×3, first 2 shown]
	v_mul_f32_e32 v22, v87, v179
	s_waitcnt vmcnt(7)
	v_mul_f32_e32 v32, v81, v193
	v_fma_f32 v22, v35, v178, -v22
	v_mul_f32_e32 v26, v35, v179
	v_fma_f32 v35, v23, v192, -v32
	v_mul_f32_e32 v32, v79, v195
	v_mul_f32_e32 v38, v39, v177
	v_fma_f32 v39, v45, v194, -v32
	v_mul_f32_e32 v32, v77, v189
	v_mul_f32_e32 v84, v55, v173
	v_mul_f32_e32 v80, v53, v175
	v_mul_f32_e32 v51, v51, v169
	v_mul_f32_e32 v49, v49, v171
	v_mul_f32_e32 v46, v47, v181
	s_waitcnt vmcnt(6)
	v_mul_f32_e32 v28, v85, v197
	v_fma_f32 v47, v41, v188, -v32
	v_mul_f32_e32 v52, v41, v189
	v_mul_f32_e32 v32, v75, v191
	v_fmac_f32_e32 v84, v101, v172
	v_fmac_f32_e32 v80, v99, v174
	;; [unrolled: 1-line block ×4, first 2 shown]
	global_load_dwordx4 v[168:171], v30, s[12:13] offset:112
	global_load_dwordx4 v[172:175], v30, s[12:13] offset:96
	v_fma_f32 v28, v31, v196, -v28
	v_mul_f32_e32 v30, v31, v197
	v_mul_f32_e32 v31, v83, v199
	v_mul_f32_e32 v45, v45, v195
	v_fmac_f32_e32 v52, v77, v188
	v_fma_f32 v77, v37, v190, -v32
	v_mul_f32_e32 v32, v73, v185
	v_fma_f32 v31, v27, v198, -v31
	v_mul_f32_e32 v27, v27, v199
	v_mul_f32_e32 v23, v23, v193
	v_fmac_f32_e32 v45, v79, v194
	v_fma_f32 v79, v33, v184, -v32
	v_mul_f32_e32 v32, v71, v187
	s_waitcnt vmcnt(6)
	v_mul_f32_e32 v76, v9, v149
	v_fmac_f32_e32 v27, v83, v198
	v_fmac_f32_e32 v23, v81, v192
	v_mul_f32_e32 v81, v33, v185
	v_fma_f32 v83, v29, v186, -v32
	v_mul_f32_e32 v32, v7, v149
	v_fmac_f32_e32 v76, v7, v148
	v_mul_f32_e32 v7, v68, v151
	v_fmac_f32_e32 v81, v73, v184
	v_mul_f32_e32 v29, v29, v187
	v_fma_f32 v73, v24, v150, -v7
	v_mul_f32_e32 v7, v69, v145
	v_fmac_f32_e32 v29, v71, v186
	v_fma_f32 v71, v25, v144, -v7
	v_mul_f32_e32 v72, v25, v145
	v_mul_f32_e32 v7, v66, v147
	v_fmac_f32_e32 v72, v69, v144
	v_fma_f32 v69, v20, v146, -v7
	v_mul_f32_e32 v70, v20, v147
	s_waitcnt vmcnt(4)
	v_mul_f32_e32 v7, v67, v157
	v_fmac_f32_e32 v70, v66, v146
	v_fma_f32 v66, v21, v156, -v7
	v_mul_f32_e32 v7, v64, v159
	v_fma_f32 v54, v18, v158, -v7
	v_mul_f32_e32 v7, v65, v153
	v_mul_f32_e32 v37, v37, v191
	v_fma_f32 v41, v19, v152, -v7
	v_mul_f32_e32 v7, v62, v155
	v_fmac_f32_e32 v37, v75, v190
	v_fma_f32 v75, v9, v148, -v32
	v_fma_f32 v7, v16, v154, -v7
	v_mul_f32_e32 v9, v16, v155
	s_waitcnt vmcnt(2)
	v_mul_f32_e32 v16, v63, v165
	v_mul_f32_e32 v74, v24, v151
	v_fma_f32 v32, v17, v164, -v16
	v_mul_f32_e32 v16, v60, v167
	v_mul_f32_e32 v43, v43, v183
	v_fmac_f32_e32 v74, v68, v150
	v_mul_f32_e32 v68, v21, v157
	v_mul_f32_e32 v55, v18, v159
	;; [unrolled: 1-line block ×3, first 2 shown]
	v_fma_f32 v53, v14, v166, -v16
	v_mul_f32_e32 v14, v14, v167
	v_mul_f32_e32 v16, v61, v161
	v_sub_f32_e32 v17, v130, v135
	v_fmac_f32_e32 v43, v91, v182
	v_fmac_f32_e32 v26, v87, v178
	;; [unrolled: 1-line block ×5, first 2 shown]
	v_fma_f32 v60, v15, v160, -v16
	v_add_f32_e32 v16, v133, v134
	v_mul_f32_e32 v18, 0xbeb8f4ab, v17
	v_mul_f32_e32 v20, 0xbf2c7751, v17
	;; [unrolled: 1-line block ×9, first 2 shown]
	v_fma_f32 v95, v16, s19, -v17
	v_fmac_f32_e32 v17, 0xbf7ba420, v16
	v_sub_f32_e32 v97, v121, v132
	v_fmac_f32_e32 v46, v93, v180
	v_fmac_f32_e32 v38, v89, v176
	;; [unrolled: 1-line block ×4, first 2 shown]
	v_fma_f32 v19, v16, s16, -v18
	v_fmac_f32_e32 v18, 0x3f6eb680, v16
	v_fma_f32 v21, v16, s14, -v20
	v_fmac_f32_e32 v20, 0x3f3d2fb0, v16
	;; [unrolled: 2-line block ×7, first 2 shown]
	v_add_f32_e32 v16, v141, v17
	v_add_f32_e32 v17, v123, v131
	v_mul_f32_e32 v99, 0xbf2c7751, v97
	v_add_f32_e32 v18, v141, v18
	v_fma_f32 v101, v17, s14, -v99
	v_fmac_f32_e32 v99, 0x3f3d2fb0, v17
	v_add_f32_e32 v19, v141, v19
	v_add_f32_e32 v18, v99, v18
	v_mul_f32_e32 v99, 0xbf7ee86f, v97
	v_add_f32_e32 v20, v141, v20
	v_add_f32_e32 v19, v101, v19
	v_fma_f32 v101, v17, s8, -v99
	v_fmac_f32_e32 v99, 0x3dbcf732, v17
	v_add_f32_e32 v21, v141, v21
	v_add_f32_e32 v20, v99, v20
	v_mul_f32_e32 v99, 0xbf4c4adb, v97
	v_add_f32_e32 v24, v141, v24
	;; [unrolled: 7-line block ×6, first 2 shown]
	v_add_f32_e32 v89, v101, v89
	v_fma_f32 v101, v17, s9, -v99
	v_fmac_f32_e32 v99, 0x3ee437d1, v17
	v_mul_f32_e32 v97, 0x3eb8f4ab, v97
	v_add_f32_e32 v91, v99, v91
	v_fma_f32 v99, v17, s16, -v97
	v_fmac_f32_e32 v97, 0x3f6eb680, v17
	v_add_f32_e32 v95, v141, v95
	v_add_f32_e32 v16, v97, v16
	v_sub_f32_e32 v97, v117, v119
	v_add_f32_e32 v93, v141, v93
	v_add_f32_e32 v95, v99, v95
	v_add_f32_e32 v17, v120, v122
	v_mul_f32_e32 v99, 0xbf65296c, v97
	v_add_f32_e32 v93, v101, v93
	v_fma_f32 v101, v17, s9, -v99
	v_fmac_f32_e32 v99, 0x3ee437d1, v17
	v_add_f32_e32 v18, v99, v18
	v_mul_f32_e32 v99, 0xbf4c4adb, v97
	v_add_f32_e32 v19, v101, v19
	v_fma_f32 v101, v17, s17, -v99
	v_fmac_f32_e32 v99, 0xbf1a4643, v17
	v_add_f32_e32 v20, v99, v20
	v_mul_f32_e32 v99, 0x3e3c28d5, v97
	v_add_f32_e32 v21, v101, v21
	v_fma_f32 v101, v17, s19, -v99
	v_fmac_f32_e32 v99, 0xbf7ba420, v17
	v_add_f32_e32 v24, v99, v24
	v_mul_f32_e32 v99, 0x3f763a35, v97
	v_add_f32_e32 v25, v101, v25
	v_fma_f32 v101, v17, s15, -v99
	v_fmac_f32_e32 v99, 0xbe8c1d8e, v17
	v_add_f32_e32 v64, v99, v64
	v_mul_f32_e32 v99, 0x3f2c7751, v97
	v_add_f32_e32 v65, v101, v65
	v_fma_f32 v101, v17, s14, -v99
	v_fmac_f32_e32 v99, 0x3f3d2fb0, v17
	v_add_f32_e32 v67, v99, v67
	v_mul_f32_e32 v99, 0xbeb8f4ab, v97
	v_add_f32_e32 v85, v101, v85
	v_fma_f32 v101, v17, s16, -v99
	v_fmac_f32_e32 v99, 0x3f6eb680, v17
	v_add_f32_e32 v87, v99, v87
	v_mul_f32_e32 v99, 0xbf7ee86f, v97
	v_add_f32_e32 v89, v101, v89
	v_fma_f32 v101, v17, s8, -v99
	v_fmac_f32_e32 v99, 0x3dbcf732, v17
	v_mul_f32_e32 v97, 0xbf06c442, v97
	v_add_f32_e32 v91, v99, v91
	v_fma_f32 v99, v17, s18, -v97
	v_fmac_f32_e32 v97, 0xbf59a7d5, v17
	v_add_f32_e32 v16, v97, v16
	v_sub_f32_e32 v97, v113, v114
	v_add_f32_e32 v95, v99, v95
	v_add_f32_e32 v17, v115, v116
	v_mul_f32_e32 v99, 0xbf7ee86f, v97
	v_add_f32_e32 v93, v101, v93
	v_fma_f32 v101, v17, s8, -v99
	v_fmac_f32_e32 v99, 0x3dbcf732, v17
	v_add_f32_e32 v18, v99, v18
	v_mul_f32_e32 v99, 0xbe3c28d5, v97
	v_add_f32_e32 v19, v101, v19
	v_fma_f32 v101, v17, s19, -v99
	v_fmac_f32_e32 v99, 0xbf7ba420, v17
	v_add_f32_e32 v20, v99, v20
	v_mul_f32_e32 v99, 0x3f763a35, v97
	v_add_f32_e32 v21, v101, v21
	v_fma_f32 v101, v17, s15, -v99
	v_fmac_f32_e32 v99, 0xbe8c1d8e, v17
	v_add_f32_e32 v24, v99, v24
	v_mul_f32_e32 v99, 0x3eb8f4ab, v97
	v_add_f32_e32 v25, v101, v25
	v_fma_f32 v101, v17, s16, -v99
	v_fmac_f32_e32 v99, 0x3f6eb680, v17
	v_add_f32_e32 v64, v99, v64
	v_mul_f32_e32 v99, 0xbf65296c, v97
	v_add_f32_e32 v65, v101, v65
	v_fma_f32 v101, v17, s9, -v99
	v_fmac_f32_e32 v99, 0x3ee437d1, v17
	v_add_f32_e32 v67, v99, v67
	v_mul_f32_e32 v99, 0xbf06c442, v97
	v_add_f32_e32 v85, v101, v85
	v_fma_f32 v101, v17, s18, -v99
	v_fmac_f32_e32 v99, 0xbf59a7d5, v17
	v_add_f32_e32 v87, v99, v87
	v_mul_f32_e32 v99, 0x3f4c4adb, v97
	v_add_f32_e32 v89, v101, v89
	v_fma_f32 v101, v17, s17, -v99
	v_fmac_f32_e32 v99, 0xbf1a4643, v17
	v_mul_f32_e32 v97, 0x3f2c7751, v97
	v_add_f32_e32 v91, v99, v91
	v_fma_f32 v99, v17, s14, -v97
	v_fmac_f32_e32 v97, 0x3f3d2fb0, v17
	v_add_f32_e32 v16, v97, v16
	v_sub_f32_e32 v97, v111, v112
	v_add_f32_e32 v95, v99, v95
	v_add_f32_e32 v17, v98, v100
	;; [unrolled: 42-line block ×5, first 2 shown]
	v_mul_f32_e32 v99, 0xbe3c28d5, v97
	v_add_f32_e32 v93, v101, v93
	v_fma_f32 v101, v17, s19, -v99
	v_fmac_f32_e32 v99, 0xbf7ba420, v17
	v_add_f32_e32 v18, v99, v18
	v_mul_f32_e32 v99, 0x3eb8f4ab, v97
	v_add_f32_e32 v19, v101, v19
	v_fma_f32 v101, v17, s16, -v99
	v_fmac_f32_e32 v99, 0x3f6eb680, v17
	v_add_f32_e32 v20, v99, v20
	;; [unrolled: 5-line block ×7, first 2 shown]
	v_mul_f32_e32 v64, 0x3f7ee86f, v97
	v_fma_f32 v97, v17, s8, -v64
	v_fmac_f32_e32 v64, 0x3dbcf732, v17
	v_add_f32_e32 v17, v64, v16
	v_add_f32_e32 v16, v136, v82
	;; [unrolled: 1-line block ×11, first 2 shown]
	v_fmac_f32_e32 v9, v62, v154
	v_mul_f32_e32 v62, v15, v161
	v_mul_f32_e32 v15, v58, v163
	v_add_f32_e32 v16, v16, v35
	v_fmac_f32_e32 v62, v61, v160
	v_fma_f32 v61, v12, v162, -v15
	v_mul_f32_e32 v12, v12, v163
	s_waitcnt vmcnt(0)
	v_mul_f32_e32 v15, v59, v173
	v_add_f32_e32 v16, v16, v39
	v_fmac_f32_e32 v12, v58, v162
	v_fma_f32 v58, v13, v172, -v15
	v_mul_f32_e32 v13, v13, v173
	s_waitcnt lgkmcnt(1)
	v_mul_f32_e32 v15, v56, v175
	v_add_f32_e32 v16, v16, v47
	v_fmac_f32_e32 v13, v59, v172
	v_fma_f32 v59, v10, v174, -v15
	v_mul_f32_e32 v10, v10, v175
	v_mul_f32_e32 v15, v57, v169
	v_add_f32_e32 v16, v16, v77
	v_fmac_f32_e32 v10, v56, v174
	v_fma_f32 v56, v11, v168, -v15
	v_mul_f32_e32 v11, v11, v169
	s_waitcnt lgkmcnt(0)
	v_mul_f32_e32 v15, v143, v171
	v_add_f32_e32 v16, v16, v79
	v_sub_f32_e32 v64, v84, v29
	v_fmac_f32_e32 v33, v63, v164
	v_fmac_f32_e32 v11, v57, v168
	v_fma_f32 v57, v142, v170, -v15
	v_mul_f32_e32 v63, v142, v171
	v_add_f32_e32 v93, v101, v93
	v_add_f32_e32 v95, v97, v95
	;; [unrolled: 1-line block ×4, first 2 shown]
	v_mul_f32_e32 v101, 0xbeb8f4ab, v64
	v_mul_f32_e32 v142, 0xbf2c7751, v64
	;; [unrolled: 1-line block ×8, first 2 shown]
	v_fmac_f32_e32 v63, v143, v170
	v_add_f32_e32 v15, v141, v133
	v_fma_f32 v141, v16, s16, -v101
	v_fmac_f32_e32 v101, 0x3f6eb680, v16
	v_fma_f32 v143, v16, s14, -v142
	v_fmac_f32_e32 v142, 0x3f3d2fb0, v16
	;; [unrolled: 2-line block ×8, first 2 shown]
	v_add_f32_e32 v141, v136, v141
	v_add_f32_e32 v101, v136, v101
	;; [unrolled: 1-line block ×16, first 2 shown]
	v_sub_f32_e32 v136, v80, v81
	v_add_f32_e32 v64, v78, v79
	v_mul_f32_e32 v155, 0xbf2c7751, v136
	v_fma_f32 v156, v64, s14, -v155
	v_fmac_f32_e32 v155, 0x3f3d2fb0, v64
	v_add_f32_e32 v101, v155, v101
	v_mul_f32_e32 v155, 0xbf7ee86f, v136
	v_add_f32_e32 v141, v156, v141
	v_fma_f32 v156, v64, s8, -v155
	v_fmac_f32_e32 v155, 0x3dbcf732, v64
	v_add_f32_e32 v142, v155, v142
	v_mul_f32_e32 v155, 0xbf4c4adb, v136
	v_add_f32_e32 v143, v156, v143
	v_fma_f32 v156, v64, s17, -v155
	v_fmac_f32_e32 v155, 0xbf1a4643, v64
	v_add_f32_e32 v144, v155, v144
	v_mul_f32_e32 v155, 0xbe3c28d5, v136
	v_add_f32_e32 v145, v156, v145
	v_fma_f32 v156, v64, s19, -v155
	v_fmac_f32_e32 v155, 0xbf7ba420, v64
	v_add_f32_e32 v146, v155, v146
	v_mul_f32_e32 v155, 0x3f06c442, v136
	v_add_f32_e32 v147, v156, v147
	v_fma_f32 v156, v64, s18, -v155
	v_fmac_f32_e32 v155, 0xbf59a7d5, v64
	v_add_f32_e32 v148, v155, v148
	v_mul_f32_e32 v155, 0x3f763a35, v136
	v_add_f32_e32 v149, v156, v149
	v_fma_f32 v156, v64, s15, -v155
	v_fmac_f32_e32 v155, 0xbe8c1d8e, v64
	v_add_f32_e32 v150, v155, v150
	v_mul_f32_e32 v155, 0x3f65296c, v136
	v_add_f32_e32 v151, v156, v151
	v_fma_f32 v156, v64, s9, -v155
	v_fmac_f32_e32 v155, 0x3ee437d1, v64
	v_mul_f32_e32 v136, 0x3eb8f4ab, v136
	v_add_f32_e32 v152, v155, v152
	v_fma_f32 v155, v64, s16, -v136
	v_fmac_f32_e32 v136, 0x3f6eb680, v64
	v_add_f32_e32 v16, v136, v16
	v_sub_f32_e32 v136, v51, v37
	v_add_f32_e32 v154, v155, v154
	v_add_f32_e32 v64, v50, v77
	v_mul_f32_e32 v155, 0xbf65296c, v136
	v_add_f32_e32 v153, v156, v153
	v_fma_f32 v156, v64, s9, -v155
	v_fmac_f32_e32 v155, 0x3ee437d1, v64
	v_add_f32_e32 v101, v155, v101
	v_mul_f32_e32 v155, 0xbf4c4adb, v136
	v_add_f32_e32 v141, v156, v141
	v_fma_f32 v156, v64, s17, -v155
	v_fmac_f32_e32 v155, 0xbf1a4643, v64
	v_add_f32_e32 v142, v155, v142
	v_mul_f32_e32 v155, 0x3e3c28d5, v136
	v_add_f32_e32 v143, v156, v143
	v_fma_f32 v156, v64, s19, -v155
	v_fmac_f32_e32 v155, 0xbf7ba420, v64
	v_add_f32_e32 v144, v155, v144
	v_mul_f32_e32 v155, 0x3f763a35, v136
	v_add_f32_e32 v145, v156, v145
	v_fma_f32 v156, v64, s15, -v155
	v_fmac_f32_e32 v155, 0xbe8c1d8e, v64
	v_add_f32_e32 v146, v155, v146
	v_mul_f32_e32 v155, 0x3f2c7751, v136
	v_add_f32_e32 v147, v156, v147
	v_fma_f32 v156, v64, s14, -v155
	v_fmac_f32_e32 v155, 0x3f3d2fb0, v64
	v_add_f32_e32 v148, v155, v148
	v_mul_f32_e32 v155, 0xbeb8f4ab, v136
	v_add_f32_e32 v149, v156, v149
	v_fma_f32 v156, v64, s16, -v155
	v_fmac_f32_e32 v155, 0x3f6eb680, v64
	v_add_f32_e32 v150, v155, v150
	v_mul_f32_e32 v155, 0xbf7ee86f, v136
	v_add_f32_e32 v151, v156, v151
	v_fma_f32 v156, v64, s8, -v155
	v_fmac_f32_e32 v155, 0x3dbcf732, v64
	v_mul_f32_e32 v136, 0xbf06c442, v136
	v_add_f32_e32 v152, v155, v152
	v_fma_f32 v155, v64, s18, -v136
	v_fmac_f32_e32 v136, 0xbf59a7d5, v64
	v_add_f32_e32 v16, v136, v16
	v_sub_f32_e32 v136, v49, v52
	v_add_f32_e32 v154, v155, v154
	v_add_f32_e32 v64, v48, v47
	v_mul_f32_e32 v155, 0xbf7ee86f, v136
	v_add_f32_e32 v153, v156, v153
	;; [unrolled: 42-line block ×6, first 2 shown]
	v_fma_f32 v156, v64, s19, -v155
	v_fmac_f32_e32 v155, 0xbf7ba420, v64
	v_add_f32_e32 v101, v155, v101
	v_mul_f32_e32 v155, 0x3eb8f4ab, v136
	v_add_f32_e32 v15, v15, v123
	v_add_f32_e32 v141, v156, v141
	v_fma_f32 v156, v64, s16, -v155
	v_fmac_f32_e32 v155, 0x3f6eb680, v64
	v_add_f32_e32 v15, v15, v120
	v_add_f32_e32 v142, v155, v142
	v_mul_f32_e32 v155, 0xbf06c442, v136
	v_add_f32_e32 v15, v15, v115
	v_add_f32_e32 v143, v156, v143
	v_fma_f32 v156, v64, s18, -v155
	v_fmac_f32_e32 v155, 0xbf59a7d5, v64
	v_add_f32_e32 v15, v15, v98
	;; [unrolled: 7-line block ×5, first 2 shown]
	v_add_f32_e32 v150, v155, v150
	v_mul_f32_e32 v155, 0xbf763a35, v136
	v_add_f32_e32 v15, v15, v100
	v_add_f32_e32 v151, v156, v151
	v_fma_f32 v156, v64, s15, -v155
	v_fmac_f32_e32 v155, 0xbe8c1d8e, v64
	v_mul_f32_e32 v136, 0x3f7ee86f, v136
	v_add_f32_e32 v15, v15, v116
	v_add_f32_e32 v152, v155, v152
	v_fma_f32 v155, v64, s8, -v136
	v_fmac_f32_e32 v136, 0x3dbcf732, v64
	v_add_f32_e32 v15, v15, v122
	v_add_f32_e32 v136, v136, v16
	v_mov_b32_e32 v16, 2
	v_add_f32_e32 v15, v15, v131
	v_mad_u32_u24 v64, v137, s6, 0
	v_lshlrev_b32_sdwa v137, v16, v138 dst_sel:DWORD dst_unused:UNUSED_PAD src0_sel:DWORD src1_sel:BYTE_0
	v_add_f32_e32 v15, v15, v134
	v_add3_u32 v64, v64, v137, v129
	s_waitcnt lgkmcnt(0)
	; wave barrier
	ds_write2_b32 v64, v15, v19 offset1:7
	ds_write2_b32 v64, v21, v25 offset0:14 offset1:21
	ds_write2_b32 v64, v65, v85 offset0:28 offset1:35
	ds_write2_b32 v64, v89, v93 offset0:42 offset1:49
	ds_write2_b32 v64, v95, v17 offset0:56 offset1:63
	ds_write2_b32 v64, v91, v87 offset0:70 offset1:77
	ds_write2_b32 v64, v67, v99 offset0:84 offset1:91
	ds_write2_b32 v64, v24, v20 offset0:98 offset1:105
	ds_write_b32 v64, v18 offset:448
	v_mad_u32_u24 v15, v139, s6, 0
	v_lshlrev_b32_sdwa v17, v16, v140 dst_sel:DWORD dst_unused:UNUSED_PAD src0_sel:DWORD src1_sel:BYTE_0
	v_add3_u32 v65, v15, v17, v129
	v_add_f32_e32 v153, v156, v153
	v_add_f32_e32 v154, v155, v154
	ds_write2_b32 v65, v97, v141 offset1:7
	ds_write2_b32 v65, v143, v145 offset0:14 offset1:21
	ds_write2_b32 v65, v147, v149 offset0:28 offset1:35
	;; [unrolled: 1-line block ×7, first 2 shown]
	ds_write_b32 v65, v101 offset:448
	s_and_saveexec_b64 s[6:7], s[0:1]
	s_cbranch_execz .LBB0_18
; %bb.17:
	v_sub_f32_e32 v17, v76, v63
	v_mul_f32_e32 v18, 0xbe3c28d5, v17
	v_sub_f32_e32 v21, v74, v11
	v_add_f32_e32 v15, v75, v57
	v_mov_b32_e32 v19, v18
	v_mul_f32_e32 v24, 0x3eb8f4ab, v21
	v_fmac_f32_e32 v19, 0xbf7ba420, v15
	v_add_f32_e32 v20, v73, v56
	v_mov_b32_e32 v25, v24
	v_sub_f32_e32 v67, v72, v10
	v_add_f32_e32 v19, v8, v19
	v_fmac_f32_e32 v25, 0x3f6eb680, v20
	v_mul_f32_e32 v85, 0xbf06c442, v67
	v_add_f32_e32 v19, v25, v19
	v_add_f32_e32 v25, v71, v59
	v_mov_b32_e32 v87, v85
	v_sub_f32_e32 v89, v70, v13
	v_fmac_f32_e32 v87, 0xbf59a7d5, v25
	v_mul_f32_e32 v91, 0x3f2c7751, v89
	v_add_f32_e32 v19, v87, v19
	v_add_f32_e32 v87, v69, v58
	v_mov_b32_e32 v93, v91
	v_sub_f32_e32 v95, v68, v12
	;; [unrolled: 6-line block ×3, first 2 shown]
	v_fma_f32 v18, v15, s19, -v18
	v_fmac_f32_e32 v99, 0xbf1a4643, v93
	v_mul_f32_e32 v136, 0x3f65296c, v101
	v_add_f32_e32 v18, v8, v18
	v_fma_f32 v24, v20, s16, -v24
	v_add_f32_e32 v19, v99, v19
	v_add_f32_e32 v99, v54, v60
	v_mov_b32_e32 v137, v136
	v_sub_f32_e32 v138, v42, v14
	v_add_f32_e32 v18, v24, v18
	v_fma_f32 v24, v25, s18, -v85
	v_fmac_f32_e32 v137, 0x3ee437d1, v99
	v_mul_f32_e32 v139, 0xbf763a35, v138
	v_add_f32_e32 v18, v24, v18
	v_fma_f32 v24, v87, s14, -v91
	v_add_f32_e32 v19, v137, v19
	v_add_f32_e32 v137, v41, v53
	v_mov_b32_e32 v140, v139
	v_add_f32_e32 v18, v24, v18
	v_fma_f32 v24, v93, s17, -v97
	v_fmac_f32_e32 v140, 0xbe8c1d8e, v137
	v_sub_f32_e32 v141, v9, v33
	v_add_f32_e32 v18, v24, v18
	v_fma_f32 v24, v99, s9, -v136
	v_add_f32_e32 v19, v140, v19
	v_add_f32_e32 v140, v7, v32
	v_mul_f32_e32 v142, 0x3f7ee86f, v141
	v_add_f32_e32 v18, v24, v18
	v_fma_f32 v24, v137, s15, -v139
	v_add_f32_e32 v18, v24, v18
	v_fma_f32 v24, v140, s8, -v142
	v_add_f32_e32 v18, v24, v18
	v_mul_f32_e32 v24, 0xbf06c442, v17
	v_mov_b32_e32 v85, v24
	v_mul_f32_e32 v91, 0x3f65296c, v21
	v_fmac_f32_e32 v85, 0xbf59a7d5, v15
	v_mov_b32_e32 v97, v91
	v_add_f32_e32 v85, v8, v85
	v_fmac_f32_e32 v97, 0x3ee437d1, v20
	v_add_f32_e32 v85, v97, v85
	v_mul_f32_e32 v97, 0xbf7ee86f, v67
	v_mov_b32_e32 v136, v97
	v_fmac_f32_e32 v136, 0x3dbcf732, v25
	v_add_f32_e32 v85, v136, v85
	v_mul_f32_e32 v136, 0x3f4c4adb, v89
	v_mov_b32_e32 v139, v136
	v_fmac_f32_e32 v139, 0xbf1a4643, v87
	v_add_f32_e32 v85, v139, v85
	v_mul_f32_e32 v139, 0xbeb8f4ab, v95
	v_mov_b32_e32 v143, v142
	v_mov_b32_e32 v142, v139
	v_fmac_f32_e32 v142, 0x3f6eb680, v93
	v_fmac_f32_e32 v143, 0x3dbcf732, v140
	v_add_f32_e32 v85, v142, v85
	v_mul_f32_e32 v142, 0xbe3c28d5, v101
	v_fma_f32 v24, v15, s18, -v24
	v_add_f32_e32 v19, v143, v19
	v_mov_b32_e32 v143, v142
	v_add_f32_e32 v24, v8, v24
	v_fma_f32 v91, v20, s9, -v91
	v_fmac_f32_e32 v143, 0xbf7ba420, v99
	v_add_f32_e32 v24, v91, v24
	v_fma_f32 v91, v25, s8, -v97
	v_add_f32_e32 v85, v143, v85
	v_mul_f32_e32 v143, 0x3f2c7751, v138
	v_add_f32_e32 v24, v91, v24
	v_fma_f32 v91, v87, s17, -v136
	v_mov_b32_e32 v144, v143
	v_add_f32_e32 v24, v91, v24
	v_fma_f32 v91, v93, s16, -v139
	v_fmac_f32_e32 v144, 0x3f3d2fb0, v137
	v_add_f32_e32 v24, v91, v24
	v_fma_f32 v91, v99, s19, -v142
	v_add_f32_e32 v85, v144, v85
	v_mul_f32_e32 v144, 0xbf763a35, v141
	v_add_f32_e32 v24, v91, v24
	v_fma_f32 v91, v137, s14, -v143
	v_add_f32_e32 v24, v91, v24
	v_fma_f32 v91, v140, s15, -v144
	v_add_f32_e32 v24, v91, v24
	v_mul_f32_e32 v91, 0xbf4c4adb, v17
	v_mov_b32_e32 v97, v91
	v_mul_f32_e32 v136, 0x3f763a35, v21
	v_fmac_f32_e32 v97, 0xbf1a4643, v15
	v_mov_b32_e32 v139, v136
	v_add_f32_e32 v97, v8, v97
	v_fmac_f32_e32 v139, 0xbe8c1d8e, v20
	v_add_f32_e32 v97, v139, v97
	v_mul_f32_e32 v139, 0xbeb8f4ab, v67
	v_mov_b32_e32 v142, v139
	v_fmac_f32_e32 v142, 0x3f6eb680, v25
	v_add_f32_e32 v97, v142, v97
	v_mul_f32_e32 v142, 0xbf06c442, v89
	v_mov_b32_e32 v143, v142
	v_fmac_f32_e32 v143, 0xbf59a7d5, v87
	v_add_f32_e32 v97, v143, v97
	v_mul_f32_e32 v143, 0x3f7ee86f, v95
	v_mov_b32_e32 v145, v144
	v_mov_b32_e32 v144, v143
	v_fmac_f32_e32 v144, 0x3dbcf732, v93
	v_fmac_f32_e32 v145, 0xbe8c1d8e, v140
	v_add_f32_e32 v97, v144, v97
	v_mul_f32_e32 v144, 0xbf2c7751, v101
	v_fma_f32 v91, v15, s17, -v91
	v_add_f32_e32 v85, v145, v85
	v_mov_b32_e32 v145, v144
	v_add_f32_e32 v91, v8, v91
	v_fma_f32 v136, v20, s15, -v136
	v_fmac_f32_e32 v145, 0x3f3d2fb0, v99
	v_add_f32_e32 v91, v136, v91
	v_fma_f32 v136, v25, s16, -v139
	v_add_f32_e32 v97, v145, v97
	v_mul_f32_e32 v145, 0xbe3c28d5, v138
	v_add_f32_e32 v91, v136, v91
	v_fma_f32 v136, v87, s18, -v142
	v_mov_b32_e32 v146, v145
	v_add_f32_e32 v91, v136, v91
	v_fma_f32 v136, v93, s8, -v143
	v_fmac_f32_e32 v146, 0xbf7ba420, v137
	v_add_f32_e32 v91, v136, v91
	v_fma_f32 v136, v99, s14, -v144
	;; [unrolled: 48-line block ×6, first 2 shown]
	v_add_f32_e32 v147, v154, v147
	v_mul_f32_e32 v154, 0x3eb8f4ab, v141
	v_add_f32_e32 v146, v148, v146
	v_fma_f32 v148, v137, s9, -v153
	v_add_f32_e32 v146, v148, v146
	v_fma_f32 v148, v140, s16, -v154
	v_mul_f32_e32 v17, 0xbeb8f4ab, v17
	v_add_f32_e32 v146, v148, v146
	v_mov_b32_e32 v148, v17
	v_fmac_f32_e32 v148, 0x3f6eb680, v15
	v_fma_f32 v15, v15, s16, -v17
	v_add_f32_e32 v148, v8, v148
	v_add_f32_e32 v15, v8, v15
	;; [unrolled: 1-line block ×4, first 2 shown]
	v_mul_f32_e32 v21, 0xbf2c7751, v21
	v_add_f32_e32 v8, v8, v71
	v_mov_b32_e32 v149, v21
	v_add_f32_e32 v8, v8, v69
	v_fmac_f32_e32 v149, 0x3f3d2fb0, v20
	v_mul_f32_e32 v67, 0xbf65296c, v67
	v_add_f32_e32 v8, v8, v66
	v_add_f32_e32 v148, v149, v148
	v_mov_b32_e32 v149, v67
	v_add_f32_e32 v8, v8, v54
	v_fmac_f32_e32 v149, 0x3ee437d1, v25
	v_mul_f32_e32 v89, 0xbf7ee86f, v89
	v_add_f32_e32 v8, v8, v41
	v_add_f32_e32 v148, v149, v148
	v_mov_b32_e32 v149, v89
	v_add_f32_e32 v8, v8, v7
	v_fmac_f32_e32 v149, 0x3dbcf732, v87
	v_mul_f32_e32 v95, 0xbf763a35, v95
	v_fma_f32 v17, v20, s14, -v21
	v_add_f32_e32 v8, v8, v32
	v_add_f32_e32 v148, v149, v148
	v_mov_b32_e32 v149, v95
	v_add_f32_e32 v15, v17, v15
	v_fma_f32 v17, v25, s9, -v67
	v_add_f32_e32 v8, v8, v53
	v_fmac_f32_e32 v149, 0xbe8c1d8e, v93
	v_mul_f32_e32 v101, 0xbf4c4adb, v101
	v_add_f32_e32 v15, v17, v15
	v_fma_f32 v17, v87, s8, -v89
	v_add_f32_e32 v8, v8, v60
	v_add_f32_e32 v148, v149, v148
	v_mov_b32_e32 v149, v101
	v_add_f32_e32 v15, v17, v15
	v_fma_f32 v17, v93, s15, -v95
	v_add_f32_e32 v8, v8, v61
	v_fmac_f32_e32 v149, 0xbf1a4643, v99
	v_mul_f32_e32 v138, 0xbf06c442, v138
	v_add_f32_e32 v15, v17, v15
	v_fma_f32 v17, v99, s17, -v101
	v_add_f32_e32 v8, v8, v58
	v_add_f32_e32 v148, v149, v148
	v_mov_b32_e32 v149, v138
	v_mul_f32_e32 v141, 0xbe3c28d5, v141
	v_add_f32_e32 v15, v17, v15
	v_fma_f32 v17, v137, s18, -v138
	v_add_f32_e32 v8, v8, v59
	v_lshlrev_b32_sdwa v16, v16, v34 dst_sel:DWORD dst_unused:UNUSED_PAD src0_sel:DWORD src1_sel:BYTE_0
	v_fmac_f32_e32 v149, 0xbf59a7d5, v137
	v_add_f32_e32 v15, v17, v15
	v_fma_f32 v17, v140, s19, -v141
	v_add_f32_e32 v8, v8, v56
	v_add3_u32 v16, 0, v16, v129
	v_mov_b32_e32 v155, v154
	v_add_f32_e32 v148, v149, v148
	v_mov_b32_e32 v149, v141
	v_add_f32_e32 v15, v17, v15
	v_add_f32_e32 v8, v8, v57
	v_add_u32_e32 v17, 0x400, v16
	v_fmac_f32_e32 v155, 0x3f6eb680, v140
	v_fmac_f32_e32 v149, 0xbf7ba420, v140
	ds_write2_b32 v17, v8, v15 offset0:220 offset1:227
	ds_write2_b32 v17, v146, v144 offset0:234 offset1:241
	;; [unrolled: 1-line block ×3, first 2 shown]
	v_add_u32_e32 v8, 0x800, v16
	v_add_f32_e32 v147, v155, v147
	v_add_f32_e32 v148, v149, v148
	ds_write2_b32 v8, v91, v24 offset0:6 offset1:13
	ds_write2_b32 v8, v18, v19 offset0:20 offset1:27
	;; [unrolled: 1-line block ×5, first 2 shown]
	ds_write_b32 v16, v148 offset:2352
.LBB0_18:
	s_or_b64 exec, exec, s[6:7]
	v_sub_f32_e32 v16, v133, v134
	v_mul_f32_e32 v17, 0xbeb8f4ab, v16
	v_mul_f32_e32 v19, 0xbf2c7751, v16
	;; [unrolled: 1-line block ×8, first 2 shown]
	v_add_f32_e32 v15, v130, v135
	v_mov_b32_e32 v18, v17
	v_mov_b32_e32 v20, v19
	;; [unrolled: 1-line block ×8, first 2 shown]
	v_sub_f32_e32 v99, v123, v131
	v_fmac_f32_e32 v18, 0x3f6eb680, v15
	v_fma_f32 v17, v15, s16, -v17
	v_fmac_f32_e32 v20, 0x3f3d2fb0, v15
	v_fma_f32 v19, v15, s14, -v19
	;; [unrolled: 2-line block ×8, first 2 shown]
	v_add_f32_e32 v16, v121, v132
	v_mul_f32_e32 v101, 0xbf2c7751, v99
	v_add_f32_e32 v8, v103, v130
	v_add_f32_e32 v18, v103, v18
	;; [unrolled: 1-line block ×17, first 2 shown]
	v_mov_b32_e32 v103, v101
	v_fma_f32 v101, v16, s14, -v101
	v_fmac_f32_e32 v103, 0x3f3d2fb0, v16
	v_add_f32_e32 v17, v101, v17
	v_mul_f32_e32 v101, 0xbf7ee86f, v99
	v_add_f32_e32 v18, v103, v18
	v_mov_b32_e32 v103, v101
	v_fma_f32 v101, v16, s8, -v101
	v_fmac_f32_e32 v103, 0x3dbcf732, v16
	v_add_f32_e32 v19, v101, v19
	v_mul_f32_e32 v101, 0xbf4c4adb, v99
	v_add_f32_e32 v20, v103, v20
	;; [unrolled: 6-line block ×6, first 2 shown]
	v_mov_b32_e32 v103, v101
	v_fma_f32 v101, v16, s9, -v101
	v_mul_f32_e32 v99, 0x3eb8f4ab, v99
	v_add_f32_e32 v93, v101, v93
	v_mov_b32_e32 v101, v99
	v_fmac_f32_e32 v103, 0x3ee437d1, v16
	v_fmac_f32_e32 v101, 0x3f6eb680, v16
	v_fma_f32 v16, v16, s16, -v99
	v_sub_f32_e32 v99, v120, v122
	v_add_f32_e32 v97, v101, v97
	v_add_f32_e32 v15, v16, v15
	;; [unrolled: 1-line block ×3, first 2 shown]
	v_mul_f32_e32 v101, 0xbf65296c, v99
	v_add_f32_e32 v95, v103, v95
	v_mov_b32_e32 v103, v101
	v_fma_f32 v101, v16, s9, -v101
	v_fmac_f32_e32 v103, 0x3ee437d1, v16
	v_add_f32_e32 v17, v101, v17
	v_mul_f32_e32 v101, 0xbf4c4adb, v99
	v_add_f32_e32 v18, v103, v18
	v_mov_b32_e32 v103, v101
	v_fma_f32 v101, v16, s17, -v101
	v_fmac_f32_e32 v103, 0xbf1a4643, v16
	v_add_f32_e32 v19, v101, v19
	;; [unrolled: 6-line block ×6, first 2 shown]
	v_mul_f32_e32 v101, 0xbf7ee86f, v99
	v_add_f32_e32 v91, v103, v91
	v_mov_b32_e32 v103, v101
	v_fma_f32 v101, v16, s8, -v101
	v_mul_f32_e32 v99, 0xbf06c442, v99
	v_add_f32_e32 v93, v101, v93
	v_mov_b32_e32 v101, v99
	v_fmac_f32_e32 v103, 0x3dbcf732, v16
	v_fmac_f32_e32 v101, 0xbf59a7d5, v16
	v_fma_f32 v16, v16, s18, -v99
	v_sub_f32_e32 v99, v115, v116
	v_add_f32_e32 v97, v101, v97
	v_add_f32_e32 v15, v16, v15
	;; [unrolled: 1-line block ×3, first 2 shown]
	v_mul_f32_e32 v101, 0xbf7ee86f, v99
	v_add_f32_e32 v95, v103, v95
	v_mov_b32_e32 v103, v101
	v_fma_f32 v101, v16, s8, -v101
	v_fmac_f32_e32 v103, 0x3dbcf732, v16
	v_add_f32_e32 v17, v101, v17
	v_mul_f32_e32 v101, 0xbe3c28d5, v99
	v_add_f32_e32 v18, v103, v18
	v_mov_b32_e32 v103, v101
	v_fma_f32 v101, v16, s19, -v101
	v_fmac_f32_e32 v103, 0xbf7ba420, v16
	v_add_f32_e32 v19, v101, v19
	;; [unrolled: 6-line block ×6, first 2 shown]
	v_mul_f32_e32 v101, 0x3f4c4adb, v99
	v_add_f32_e32 v91, v103, v91
	v_mov_b32_e32 v103, v101
	v_fma_f32 v101, v16, s17, -v101
	v_mul_f32_e32 v99, 0x3f2c7751, v99
	v_add_f32_e32 v93, v101, v93
	v_mov_b32_e32 v101, v99
	v_fmac_f32_e32 v103, 0xbf1a4643, v16
	v_fmac_f32_e32 v101, 0x3f3d2fb0, v16
	v_fma_f32 v16, v16, s14, -v99
	v_sub_f32_e32 v98, v98, v100
	v_add_f32_e32 v15, v16, v15
	v_add_f32_e32 v16, v111, v112
	v_mul_f32_e32 v99, 0xbf763a35, v98
	v_mov_b32_e32 v100, v99
	v_fma_f32 v99, v16, s15, -v99
	v_fmac_f32_e32 v100, 0xbe8c1d8e, v16
	v_add_f32_e32 v17, v99, v17
	v_mul_f32_e32 v99, 0x3f06c442, v98
	v_add_f32_e32 v18, v100, v18
	v_mov_b32_e32 v100, v99
	v_fma_f32 v99, v16, s18, -v99
	v_fmac_f32_e32 v100, 0xbf59a7d5, v16
	v_add_f32_e32 v19, v99, v19
	v_mul_f32_e32 v99, 0x3f2c7751, v98
	v_add_f32_e32 v20, v100, v20
	v_mov_b32_e32 v100, v99
	v_fma_f32 v99, v16, s14, -v99
	v_fmac_f32_e32 v100, 0x3f3d2fb0, v16
	v_add_f32_e32 v21, v99, v21
	v_mul_f32_e32 v99, 0xbf65296c, v98
	v_add_f32_e32 v24, v100, v24
	v_mov_b32_e32 v100, v99
	v_fma_f32 v99, v16, s9, -v99
	v_fmac_f32_e32 v100, 0x3ee437d1, v16
	v_add_f32_e32 v25, v99, v25
	v_mul_f32_e32 v99, 0xbe3c28d5, v98
	v_add_f32_e32 v67, v100, v67
	v_mov_b32_e32 v100, v99
	v_fma_f32 v99, v16, s19, -v99
	v_fmac_f32_e32 v100, 0xbf7ba420, v16
	v_add_f32_e32 v85, v99, v85
	v_mul_f32_e32 v99, 0x3f7ee86f, v98
	v_add_f32_e32 v87, v100, v87
	v_mov_b32_e32 v100, v99
	v_fma_f32 v99, v16, s8, -v99
	v_fmac_f32_e32 v100, 0x3dbcf732, v16
	v_add_f32_e32 v89, v99, v89
	v_mul_f32_e32 v99, 0xbeb8f4ab, v98
	v_add_f32_e32 v91, v100, v91
	v_mov_b32_e32 v100, v99
	v_fma_f32 v99, v16, s16, -v99
	v_mul_f32_e32 v98, 0xbf4c4adb, v98
	v_add_f32_e32 v93, v99, v93
	v_mov_b32_e32 v99, v98
	v_fmac_f32_e32 v100, 0x3f6eb680, v16
	v_fmac_f32_e32 v99, 0xbf1a4643, v16
	v_fma_f32 v16, v16, s17, -v98
	v_sub_f32_e32 v94, v94, v96
	v_add_f32_e32 v15, v16, v15
	v_add_f32_e32 v16, v109, v110
	v_mul_f32_e32 v96, 0xbf4c4adb, v94
	v_mov_b32_e32 v98, v96
	v_fma_f32 v96, v16, s17, -v96
	v_fmac_f32_e32 v98, 0xbf1a4643, v16
	v_add_f32_e32 v17, v96, v17
	v_mul_f32_e32 v96, 0x3f763a35, v94
	v_add_f32_e32 v18, v98, v18
	v_mov_b32_e32 v98, v96
	v_fma_f32 v96, v16, s15, -v96
	v_fmac_f32_e32 v98, 0xbe8c1d8e, v16
	v_add_f32_e32 v19, v96, v19
	v_mul_f32_e32 v96, 0xbeb8f4ab, v94
	v_add_f32_e32 v20, v98, v20
	v_mov_b32_e32 v98, v96
	v_fma_f32 v96, v16, s16, -v96
	v_fmac_f32_e32 v98, 0x3f6eb680, v16
	v_add_f32_e32 v21, v96, v21
	v_mul_f32_e32 v96, 0xbf06c442, v94
	v_add_f32_e32 v24, v98, v24
	v_mov_b32_e32 v98, v96
	v_fma_f32 v96, v16, s18, -v96
	v_fmac_f32_e32 v98, 0xbf59a7d5, v16
	v_add_f32_e32 v25, v96, v25
	v_mul_f32_e32 v96, 0x3f7ee86f, v94
	v_add_f32_e32 v67, v98, v67
	v_mov_b32_e32 v98, v96
	v_fma_f32 v96, v16, s8, -v96
	v_fmac_f32_e32 v98, 0x3dbcf732, v16
	v_add_f32_e32 v85, v96, v85
	v_mul_f32_e32 v96, 0xbf2c7751, v94
	v_add_f32_e32 v87, v98, v87
	v_mov_b32_e32 v98, v96
	v_fma_f32 v96, v16, s14, -v96
	v_fmac_f32_e32 v98, 0x3f3d2fb0, v16
	v_add_f32_e32 v89, v96, v89
	;; [unrolled: 48-line block ×3, first 2 shown]
	v_mul_f32_e32 v92, 0x3f2c7751, v90
	v_add_f32_e32 v91, v94, v91
	v_mov_b32_e32 v94, v92
	v_fma_f32 v92, v16, s14, -v92
	v_mul_f32_e32 v90, 0xbf763a35, v90
	v_add_f32_e32 v92, v92, v93
	v_mov_b32_e32 v93, v90
	v_sub_f32_e32 v86, v88, v86
	v_fmac_f32_e32 v94, 0x3f3d2fb0, v16
	v_fmac_f32_e32 v93, 0xbe8c1d8e, v16
	v_fma_f32 v16, v16, s15, -v90
	v_mul_f32_e32 v88, 0xbe3c28d5, v86
	v_add_f32_e32 v15, v16, v15
	v_add_f32_e32 v16, v105, v106
	v_mov_b32_e32 v90, v88
	v_fmac_f32_e32 v90, 0xbf7ba420, v16
	v_add_f32_e32 v97, v101, v97
	v_add_f32_e32 v90, v90, v18
	v_fma_f32 v18, v16, s19, -v88
	v_add_f32_e32 v95, v103, v95
	v_add_f32_e32 v97, v99, v97
	;; [unrolled: 1-line block ×3, first 2 shown]
	v_mul_f32_e32 v17, 0x3eb8f4ab, v86
	v_add_f32_e32 v95, v100, v95
	v_add_f32_e32 v96, v96, v97
	v_mov_b32_e32 v18, v17
	v_fma_f32 v17, v16, s16, -v17
	v_add_f32_e32 v95, v98, v95
	v_add_f32_e32 v93, v93, v96
	v_fmac_f32_e32 v18, 0x3f6eb680, v16
	v_add_f32_e32 v96, v17, v19
	v_mul_f32_e32 v17, 0xbf06c442, v86
	v_add_f32_e32 v94, v94, v95
	v_add_f32_e32 v95, v18, v20
	v_mov_b32_e32 v18, v17
	v_fma_f32 v17, v16, s18, -v17
	v_fmac_f32_e32 v18, 0xbf59a7d5, v16
	v_add_f32_e32 v98, v17, v21
	v_mul_f32_e32 v17, 0x3f2c7751, v86
	v_add_f32_e32 v97, v18, v24
	v_mov_b32_e32 v18, v17
	v_fma_f32 v17, v16, s14, -v17
	v_fmac_f32_e32 v18, 0x3f3d2fb0, v16
	v_add_f32_e32 v100, v17, v25
	v_mul_f32_e32 v17, 0xbf4c4adb, v86
	;; [unrolled: 6-line block ×5, first 2 shown]
	v_add_f32_e32 v94, v18, v94
	v_mov_b32_e32 v18, v17
	v_fmac_f32_e32 v18, 0x3dbcf732, v16
	v_fma_f32 v16, v16, s8, -v17
	v_add_f32_e32 v86, v18, v93
	v_add_f32_e32 v93, v16, v15
	;; [unrolled: 1-line block ×22, first 2 shown]
	v_sub_f32_e32 v16, v82, v83
	v_add_f32_e32 v8, v8, v105
	v_add_f32_e32 v15, v15, v81
	v_mul_f32_e32 v17, 0xbeb8f4ab, v16
	v_mul_f32_e32 v19, 0xbf2c7751, v16
	;; [unrolled: 1-line block ×8, first 2 shown]
	v_add_f32_e32 v8, v8, v106
	v_add_f32_e32 v101, v15, v29
	;; [unrolled: 1-line block ×3, first 2 shown]
	v_mov_b32_e32 v18, v17
	v_mov_b32_e32 v20, v19
	;; [unrolled: 1-line block ×8, first 2 shown]
	v_sub_f32_e32 v78, v78, v79
	v_fmac_f32_e32 v18, 0x3f6eb680, v15
	v_fma_f32 v17, v15, s16, -v17
	v_fmac_f32_e32 v20, 0x3f3d2fb0, v15
	v_fma_f32 v19, v15, s14, -v19
	;; [unrolled: 2-line block ×8, first 2 shown]
	v_add_f32_e32 v16, v80, v81
	v_mul_f32_e32 v79, 0xbf2c7751, v78
	v_add_f32_e32 v17, v102, v17
	v_mov_b32_e32 v80, v79
	v_fma_f32 v79, v16, s14, -v79
	v_add_f32_e32 v18, v102, v18
	v_fmac_f32_e32 v80, 0x3f3d2fb0, v16
	v_add_f32_e32 v17, v79, v17
	v_mul_f32_e32 v79, 0xbf7ee86f, v78
	v_add_f32_e32 v19, v102, v19
	v_add_f32_e32 v18, v80, v18
	v_mov_b32_e32 v80, v79
	v_fma_f32 v79, v16, s8, -v79
	v_add_f32_e32 v20, v102, v20
	v_fmac_f32_e32 v80, 0x3dbcf732, v16
	v_add_f32_e32 v19, v79, v19
	v_mul_f32_e32 v79, 0xbf4c4adb, v78
	v_add_f32_e32 v21, v102, v21
	;; [unrolled: 8-line block ×4, first 2 shown]
	v_add_f32_e32 v29, v80, v29
	v_mov_b32_e32 v80, v79
	v_fma_f32 v79, v16, s18, -v79
	v_add_f32_e32 v67, v79, v67
	v_mul_f32_e32 v79, 0x3f763a35, v78
	v_add_f32_e32 v82, v102, v82
	v_fmac_f32_e32 v80, 0xbf59a7d5, v16
	v_mov_b32_e32 v81, v79
	v_add_f32_e32 v84, v102, v84
	v_add_f32_e32 v83, v102, v83
	;; [unrolled: 1-line block ×3, first 2 shown]
	v_fmac_f32_e32 v81, 0xbe8c1d8e, v16
	v_fma_f32 v79, v16, s15, -v79
	v_mul_f32_e32 v82, 0x3f65296c, v78
	v_mul_f32_e32 v78, 0x3eb8f4ab, v78
	v_add_f32_e32 v81, v81, v84
	v_add_f32_e32 v79, v79, v83
	v_mov_b32_e32 v83, v82
	v_mov_b32_e32 v84, v78
	v_add_f32_e32 v15, v102, v15
	v_fmac_f32_e32 v83, 0x3ee437d1, v16
	v_fma_f32 v82, v16, s9, -v82
	v_fmac_f32_e32 v84, 0x3f6eb680, v16
	v_fma_f32 v16, v16, s16, -v78
	v_add_f32_e32 v15, v16, v15
	v_add_f32_e32 v16, v51, v37
	v_sub_f32_e32 v37, v50, v77
	v_mul_f32_e32 v50, 0xbf65296c, v37
	v_mov_b32_e32 v51, v50
	v_fma_f32 v50, v16, s9, -v50
	v_fmac_f32_e32 v51, 0x3ee437d1, v16
	v_add_f32_e32 v17, v50, v17
	v_mul_f32_e32 v50, 0xbf4c4adb, v37
	v_add_f32_e32 v18, v51, v18
	v_mov_b32_e32 v51, v50
	v_fma_f32 v50, v16, s17, -v50
	v_fmac_f32_e32 v51, 0xbf1a4643, v16
	v_add_f32_e32 v19, v50, v19
	v_mul_f32_e32 v50, 0x3e3c28d5, v37
	v_add_f32_e32 v20, v51, v20
	;; [unrolled: 6-line block ×4, first 2 shown]
	v_mov_b32_e32 v51, v50
	v_fma_f32 v50, v16, s14, -v50
	v_add_f32_e32 v50, v50, v67
	v_mul_f32_e32 v67, 0xbeb8f4ab, v37
	v_fmac_f32_e32 v51, 0x3f3d2fb0, v16
	v_mov_b32_e32 v77, v67
	v_fma_f32 v67, v16, s16, -v67
	v_mul_f32_e32 v78, 0xbf7ee86f, v37
	v_mul_f32_e32 v37, 0xbf06c442, v37
	v_add_f32_e32 v51, v51, v80
	v_add_f32_e32 v67, v67, v79
	v_mov_b32_e32 v79, v78
	v_mov_b32_e32 v80, v37
	v_fmac_f32_e32 v77, 0x3f6eb680, v16
	v_fmac_f32_e32 v79, 0x3dbcf732, v16
	v_fma_f32 v78, v16, s8, -v78
	v_fmac_f32_e32 v80, 0xbf59a7d5, v16
	v_fma_f32 v16, v16, s18, -v37
	v_sub_f32_e32 v37, v48, v47
	v_add_f32_e32 v15, v16, v15
	v_add_f32_e32 v16, v49, v52
	v_mul_f32_e32 v47, 0xbf7ee86f, v37
	v_mov_b32_e32 v48, v47
	v_fma_f32 v47, v16, s8, -v47
	v_fmac_f32_e32 v48, 0x3dbcf732, v16
	v_add_f32_e32 v17, v47, v17
	v_mul_f32_e32 v47, 0xbe3c28d5, v37
	v_add_f32_e32 v18, v48, v18
	v_mov_b32_e32 v48, v47
	v_fma_f32 v47, v16, s19, -v47
	v_fmac_f32_e32 v48, 0xbf7ba420, v16
	v_add_f32_e32 v19, v47, v19
	v_mul_f32_e32 v47, 0x3f763a35, v37
	v_add_f32_e32 v20, v48, v20
	;; [unrolled: 6-line block ×4, first 2 shown]
	v_mov_b32_e32 v48, v47
	v_fmac_f32_e32 v48, 0x3ee437d1, v16
	v_fma_f32 v47, v16, s9, -v47
	v_mul_f32_e32 v49, 0xbf06c442, v37
	v_add_f32_e32 v48, v48, v51
	v_add_f32_e32 v47, v47, v50
	v_mov_b32_e32 v50, v49
	v_fma_f32 v49, v16, s18, -v49
	v_mul_f32_e32 v51, 0x3f4c4adb, v37
	v_mul_f32_e32 v37, 0x3f2c7751, v37
	v_add_f32_e32 v49, v49, v67
	v_mov_b32_e32 v52, v51
	v_mov_b32_e32 v67, v37
	v_fmac_f32_e32 v50, 0xbf59a7d5, v16
	v_fmac_f32_e32 v52, 0xbf1a4643, v16
	v_fma_f32 v51, v16, s17, -v51
	v_fmac_f32_e32 v67, 0x3f3d2fb0, v16
	v_fma_f32 v16, v16, s14, -v37
	v_sub_f32_e32 v37, v44, v39
	v_add_f32_e32 v15, v16, v15
	v_add_f32_e32 v16, v46, v45
	v_mul_f32_e32 v39, 0xbf763a35, v37
	v_mov_b32_e32 v44, v39
	v_fma_f32 v39, v16, s15, -v39
	v_fmac_f32_e32 v44, 0xbe8c1d8e, v16
	v_add_f32_e32 v17, v39, v17
	v_mul_f32_e32 v39, 0x3f06c442, v37
	v_add_f32_e32 v18, v44, v18
	v_mov_b32_e32 v44, v39
	v_fma_f32 v39, v16, s18, -v39
	v_fmac_f32_e32 v44, 0xbf59a7d5, v16
	v_add_f32_e32 v19, v39, v19
	v_mul_f32_e32 v39, 0x3f2c7751, v37
	v_add_f32_e32 v20, v44, v20
	;; [unrolled: 6-line block ×4, first 2 shown]
	v_mov_b32_e32 v44, v39
	v_fma_f32 v39, v16, s19, -v39
	v_mul_f32_e32 v45, 0x3f7ee86f, v37
	v_fmac_f32_e32 v44, 0xbf7ba420, v16
	v_add_f32_e32 v39, v39, v47
	v_mov_b32_e32 v46, v45
	v_fma_f32 v45, v16, s8, -v45
	v_mul_f32_e32 v47, 0xbeb8f4ab, v37
	v_mul_f32_e32 v37, 0xbf4c4adb, v37
	v_add_f32_e32 v44, v44, v48
	v_add_f32_e32 v45, v45, v49
	v_mov_b32_e32 v48, v47
	v_mov_b32_e32 v49, v37
	v_fmac_f32_e32 v46, 0x3dbcf732, v16
	v_fmac_f32_e32 v48, 0x3f6eb680, v16
	v_fma_f32 v47, v16, s16, -v47
	v_fmac_f32_e32 v49, 0xbf1a4643, v16
	v_fma_f32 v16, v16, s17, -v37
	v_add_f32_e32 v15, v16, v15
	v_add_f32_e32 v16, v43, v23
	v_sub_f32_e32 v23, v40, v35
	v_mul_f32_e32 v35, 0xbf4c4adb, v23
	v_mov_b32_e32 v37, v35
	v_fma_f32 v35, v16, s17, -v35
	v_fmac_f32_e32 v37, 0xbf1a4643, v16
	v_add_f32_e32 v17, v35, v17
	v_mul_f32_e32 v35, 0x3f763a35, v23
	v_add_f32_e32 v18, v37, v18
	v_mov_b32_e32 v37, v35
	v_fma_f32 v35, v16, s15, -v35
	v_fmac_f32_e32 v37, 0xbe8c1d8e, v16
	v_add_f32_e32 v19, v35, v19
	v_mul_f32_e32 v35, 0xbeb8f4ab, v23
	v_add_f32_e32 v20, v37, v20
	;; [unrolled: 6-line block ×4, first 2 shown]
	v_mov_b32_e32 v37, v35
	v_fma_f32 v35, v16, s8, -v35
	v_add_f32_e32 v35, v35, v39
	v_mul_f32_e32 v39, 0xbf2c7751, v23
	v_fmac_f32_e32 v37, 0x3dbcf732, v16
	v_mov_b32_e32 v40, v39
	v_fma_f32 v39, v16, s14, -v39
	v_mul_f32_e32 v43, 0xbe3c28d5, v23
	v_mul_f32_e32 v23, 0x3f65296c, v23
	v_add_f32_e32 v37, v37, v44
	v_add_f32_e32 v39, v39, v45
	v_mov_b32_e32 v44, v43
	v_mov_b32_e32 v45, v23
	v_fmac_f32_e32 v40, 0x3f3d2fb0, v16
	v_fmac_f32_e32 v44, 0xbf7ba420, v16
	v_fma_f32 v43, v16, s19, -v43
	v_fmac_f32_e32 v45, 0x3ee437d1, v16
	v_fma_f32 v16, v16, s9, -v23
	v_sub_f32_e32 v23, v36, v31
	v_add_f32_e32 v15, v16, v15
	v_add_f32_e32 v16, v38, v27
	v_mul_f32_e32 v27, 0xbf06c442, v23
	v_mov_b32_e32 v31, v27
	v_fma_f32 v27, v16, s18, -v27
	v_fmac_f32_e32 v31, 0xbf59a7d5, v16
	v_add_f32_e32 v17, v27, v17
	v_mul_f32_e32 v27, 0x3f65296c, v23
	v_add_f32_e32 v18, v31, v18
	v_mov_b32_e32 v31, v27
	v_fma_f32 v27, v16, s9, -v27
	v_fmac_f32_e32 v31, 0x3ee437d1, v16
	v_add_f32_e32 v19, v27, v19
	v_mul_f32_e32 v27, 0xbf7ee86f, v23
	v_add_f32_e32 v20, v31, v20
	;; [unrolled: 6-line block ×5, first 2 shown]
	v_mov_b32_e32 v36, v35
	v_fma_f32 v35, v16, s19, -v35
	v_mul_f32_e32 v37, 0x3f2c7751, v23
	v_mul_f32_e32 v23, 0xbf763a35, v23
	v_add_f32_e32 v35, v35, v39
	v_mov_b32_e32 v38, v37
	v_mov_b32_e32 v39, v23
	v_sub_f32_e32 v22, v22, v28
	v_fmac_f32_e32 v36, 0xbf7ba420, v16
	v_fmac_f32_e32 v38, 0x3f3d2fb0, v16
	v_fma_f32 v37, v16, s14, -v37
	v_fmac_f32_e32 v39, 0xbe8c1d8e, v16
	v_fma_f32 v16, v16, s15, -v23
	v_mul_f32_e32 v23, 0xbe3c28d5, v22
	v_add_f32_e32 v106, v102, v106
	v_add_f32_e32 v15, v16, v15
	;; [unrolled: 1-line block ×3, first 2 shown]
	v_mov_b32_e32 v26, v23
	v_add_f32_e32 v84, v84, v106
	v_fmac_f32_e32 v26, 0xbf7ba420, v16
	v_add_f32_e32 v80, v80, v84
	v_add_f32_e32 v84, v26, v18
	v_fma_f32 v18, v16, s19, -v23
	v_add_f32_e32 v105, v102, v105
	v_add_f32_e32 v103, v102, v103
	;; [unrolled: 1-line block ×3, first 2 shown]
	v_mul_f32_e32 v17, 0x3eb8f4ab, v22
	v_mov_b32_e32 v18, v17
	v_fma_f32 v17, v16, s16, -v17
	v_add_f32_e32 v83, v83, v105
	v_fmac_f32_e32 v18, 0x3f6eb680, v16
	v_add_f32_e32 v105, v17, v19
	v_mul_f32_e32 v17, 0xbf06c442, v22
	v_add_f32_e32 v82, v82, v103
	v_add_f32_e32 v103, v18, v20
	v_mov_b32_e32 v18, v17
	v_fma_f32 v17, v16, s18, -v17
	v_fmac_f32_e32 v18, 0xbf59a7d5, v16
	v_add_f32_e32 v107, v17, v21
	v_mul_f32_e32 v17, 0x3f2c7751, v22
	v_add_f32_e32 v106, v18, v24
	v_mov_b32_e32 v18, v17
	v_fma_f32 v17, v16, s14, -v17
	v_add_f32_e32 v77, v77, v81
	v_fmac_f32_e32 v18, 0x3f3d2fb0, v16
	v_add_f32_e32 v109, v17, v25
	v_mul_f32_e32 v17, 0xbf4c4adb, v22
	v_add_f32_e32 v8, v8, v108
	v_add_f32_e32 v78, v78, v82
	;; [unrolled: 1-line block ×4, first 2 shown]
	v_mov_b32_e32 v18, v17
	v_fma_f32 v17, v16, s17, -v17
	v_add_f32_e32 v79, v79, v83
	v_add_f32_e32 v51, v51, v78
	;; [unrolled: 1-line block ×3, first 2 shown]
	v_fmac_f32_e32 v18, 0xbf1a4643, v16
	v_add_f32_e32 v111, v17, v27
	v_mul_f32_e32 v17, 0x3f65296c, v22
	v_add_f32_e32 v8, v8, v110
	v_add_f32_e32 v52, v52, v79
	;; [unrolled: 1-line block ×5, first 2 shown]
	v_mov_b32_e32 v18, v17
	v_fma_f32 v17, v16, s9, -v17
	v_add_f32_e32 v48, v48, v52
	v_add_f32_e32 v43, v43, v47
	;; [unrolled: 1-line block ×3, first 2 shown]
	v_fmac_f32_e32 v18, 0x3ee437d1, v16
	v_add_f32_e32 v113, v17, v35
	v_mul_f32_e32 v17, 0xbf763a35, v22
	v_add_f32_e32 v8, v8, v112
	v_add_f32_e32 v67, v67, v80
	;; [unrolled: 1-line block ×5, first 2 shown]
	v_mov_b32_e32 v18, v17
	v_fma_f32 v17, v16, s15, -v17
	v_add_f32_e32 v49, v49, v67
	v_add_f32_e32 v38, v38, v44
	v_fmac_f32_e32 v18, 0xbe8c1d8e, v16
	v_add_f32_e32 v115, v17, v37
	v_mul_f32_e32 v17, 0x3f7ee86f, v22
	v_add_f32_e32 v8, v8, v114
	v_add_f32_e32 v45, v45, v49
	;; [unrolled: 1-line block ×3, first 2 shown]
	v_mov_b32_e32 v18, v17
	v_add_f32_e32 v39, v39, v45
	v_fmac_f32_e32 v18, 0x3dbcf732, v16
	v_fma_f32 v16, v16, s8, -v17
	v_add_u32_e32 v27, 0x400, v104
	v_add_u32_e32 v23, 0x200, v104
	v_lshlrev_b32_e32 v49, 2, v126
	v_lshlrev_b32_e32 v52, 2, v127
	v_add_u32_e32 v28, 0x800, v104
	v_lshlrev_b32_e32 v31, 2, v128
	v_add_f32_e32 v116, v18, v39
	v_add_f32_e32 v117, v16, v15
	s_waitcnt lgkmcnt(0)
	; wave barrier
	s_waitcnt lgkmcnt(0)
	ds_read2_b32 v[15:16], v104 offset0:119 offset1:136
	ds_read2_b32 v[19:20], v104 offset0:221 offset1:238
	;; [unrolled: 1-line block ×6, first 2 shown]
	v_add3_u32 v80, 0, v49, v129
	ds_read2_b32 v[37:38], v104 offset0:153 offset1:170
	ds_read2_b32 v[39:40], v27 offset0:135 offset1:152
	v_add3_u32 v82, 0, v52, v129
	ds_read2_b32 v[47:48], v27 offset0:33 offset1:50
	ds_read2_b32 v[45:46], v28 offset0:15 offset1:32
	v_add3_u32 v83, 0, v31, v129
	ds_read_b32 v77, v0
	ds_read_b32 v78, v118
	;; [unrolled: 1-line block ×5, first 2 shown]
	ds_read2_b32 v[43:44], v104 offset0:187 offset1:204
	ds_read2_b32 v[50:51], v27 offset0:169 offset1:186
	;; [unrolled: 1-line block ×5, first 2 shown]
	v_add_f32_e32 v8, v8, v119
	v_add_f32_e32 v8, v8, v132
	;; [unrolled: 1-line block ×3, first 2 shown]
	s_waitcnt lgkmcnt(0)
	; wave barrier
	s_waitcnt lgkmcnt(0)
	ds_write2_b32 v64, v8, v90 offset1:7
	ds_write2_b32 v64, v95, v97 offset0:14 offset1:21
	ds_write2_b32 v64, v99, v87 offset0:28 offset1:35
	;; [unrolled: 1-line block ×7, first 2 shown]
	ds_write_b32 v64, v88 offset:448
	ds_write2_b32 v65, v101, v84 offset1:7
	ds_write2_b32 v65, v103, v106 offset0:14 offset1:21
	ds_write2_b32 v65, v108, v110 offset0:28 offset1:35
	;; [unrolled: 1-line block ×7, first 2 shown]
	ds_write_b32 v65, v102 offset:448
	s_and_saveexec_b64 s[6:7], s[0:1]
	s_cbranch_execz .LBB0_20
; %bb.19:
	v_add_f32_e32 v8, v6, v76
	v_add_f32_e32 v8, v8, v74
	;; [unrolled: 1-line block ×14, first 2 shown]
	v_sub_f32_e32 v57, v75, v57
	v_add_f32_e32 v8, v8, v11
	v_mul_f32_e32 v64, 0xbeb8f4ab, v57
	v_mul_f32_e32 v75, 0xbf2c7751, v57
	;; [unrolled: 1-line block ×8, first 2 shown]
	v_add_f32_e32 v8, v8, v63
	v_add_f32_e32 v63, v76, v63
	s_mov_b32 s14, 0x3f6eb680
	s_mov_b32 s8, 0x3f3d2fb0
	;; [unrolled: 1-line block ×8, first 2 shown]
	v_mov_b32_e32 v94, v57
	v_fma_f32 v65, v63, s14, -v64
	v_fmac_f32_e32 v64, 0x3f6eb680, v63
	v_fma_f32 v76, v63, s8, -v75
	v_fmac_f32_e32 v75, 0x3f3d2fb0, v63
	;; [unrolled: 2-line block ×7, first 2 shown]
	v_fmac_f32_e32 v94, 0xbf7ba420, v63
	v_fma_f32 v57, v63, s17, -v57
	v_sub_f32_e32 v56, v73, v56
	v_add_f32_e32 v64, v6, v64
	v_add_f32_e32 v65, v6, v65
	;; [unrolled: 1-line block ×17, first 2 shown]
	v_mul_f32_e32 v57, 0xbf2c7751, v56
	v_fma_f32 v63, v11, s8, -v57
	v_fmac_f32_e32 v57, 0x3f3d2fb0, v11
	v_add_f32_e32 v57, v57, v64
	v_mul_f32_e32 v64, 0xbf7ee86f, v56
	v_add_f32_e32 v63, v63, v65
	v_fma_f32 v65, v11, s0, -v64
	v_fmac_f32_e32 v64, 0x3dbcf732, v11
	v_mul_f32_e32 v73, 0xbf4c4adb, v56
	v_add_f32_e32 v64, v64, v75
	v_fma_f32 v74, v11, s15, -v73
	v_fmac_f32_e32 v73, 0xbf1a4643, v11
	v_mul_f32_e32 v75, 0xbe3c28d5, v56
	v_add_f32_e32 v65, v65, v76
	v_add_f32_e32 v73, v73, v84
	v_fma_f32 v76, v11, s17, -v75
	v_fmac_f32_e32 v75, 0xbf7ba420, v11
	v_mul_f32_e32 v84, 0x3f06c442, v56
	v_add_f32_e32 v74, v74, v85
	;; [unrolled: 5-line block ×3, first 2 shown]
	v_add_f32_e32 v84, v84, v88
	v_fma_f32 v87, v11, s9, -v86
	v_fmac_f32_e32 v86, 0xbe8c1d8e, v11
	v_mul_f32_e32 v88, 0x3f65296c, v56
	v_mul_f32_e32 v56, 0x3eb8f4ab, v56
	v_add_f32_e32 v86, v86, v90
	v_mov_b32_e32 v90, v56
	v_add_f32_e32 v85, v85, v89
	v_fma_f32 v89, v11, s1, -v88
	v_fmac_f32_e32 v88, 0x3ee437d1, v11
	v_fmac_f32_e32 v90, 0x3f6eb680, v11
	v_fma_f32 v11, v11, s14, -v56
	v_add_f32_e32 v6, v11, v6
	v_sub_f32_e32 v11, v71, v59
	v_add_f32_e32 v10, v72, v10
	v_mul_f32_e32 v56, 0xbf65296c, v11
	v_fma_f32 v59, v10, s1, -v56
	v_fmac_f32_e32 v56, 0x3ee437d1, v10
	v_add_f32_e32 v56, v56, v57
	v_add_f32_e32 v57, v59, v63
	v_mul_f32_e32 v59, 0xbf4c4adb, v11
	v_fma_f32 v63, v10, s15, -v59
	v_fmac_f32_e32 v59, 0xbf1a4643, v10
	v_add_f32_e32 v59, v59, v64
	v_mul_f32_e32 v64, 0x3e3c28d5, v11
	v_add_f32_e32 v63, v63, v65
	v_fma_f32 v65, v10, s17, -v64
	v_fmac_f32_e32 v64, 0xbf7ba420, v10
	v_mul_f32_e32 v71, 0x3f763a35, v11
	v_add_f32_e32 v64, v64, v73
	v_fma_f32 v72, v10, s9, -v71
	v_fmac_f32_e32 v71, 0xbe8c1d8e, v10
	v_mul_f32_e32 v73, 0x3f2c7751, v11
	v_add_f32_e32 v65, v65, v74
	v_add_f32_e32 v71, v71, v75
	v_fma_f32 v74, v10, s8, -v73
	v_fmac_f32_e32 v73, 0x3f3d2fb0, v10
	v_mul_f32_e32 v75, 0xbeb8f4ab, v11
	v_add_f32_e32 v72, v72, v76
	v_add_f32_e32 v73, v73, v84
	v_fma_f32 v76, v10, s14, -v75
	v_fmac_f32_e32 v75, 0x3f6eb680, v10
	v_mul_f32_e32 v84, 0xbf7ee86f, v11
	v_mul_f32_e32 v11, 0xbf06c442, v11
	v_add_f32_e32 v75, v75, v86
	v_mov_b32_e32 v86, v11
	v_add_f32_e32 v74, v74, v85
	v_fma_f32 v85, v10, s0, -v84
	v_fmac_f32_e32 v84, 0x3dbcf732, v10
	v_fmac_f32_e32 v86, 0xbf59a7d5, v10
	v_fma_f32 v10, v10, s16, -v11
	v_sub_f32_e32 v11, v69, v58
	v_add_f32_e32 v6, v10, v6
	v_add_f32_e32 v10, v70, v13
	v_mul_f32_e32 v13, 0xbf7ee86f, v11
	v_fma_f32 v58, v10, s0, -v13
	v_fmac_f32_e32 v13, 0x3dbcf732, v10
	v_add_f32_e32 v13, v13, v56
	v_add_f32_e32 v56, v58, v57
	v_mul_f32_e32 v57, 0xbe3c28d5, v11
	v_fma_f32 v58, v10, s17, -v57
	v_fmac_f32_e32 v57, 0xbf7ba420, v10
	v_add_f32_e32 v57, v57, v59
	v_mul_f32_e32 v59, 0x3f763a35, v11
	v_add_f32_e32 v58, v58, v63
	v_fma_f32 v63, v10, s9, -v59
	v_fmac_f32_e32 v59, 0xbe8c1d8e, v10
	v_add_f32_e32 v59, v59, v64
	v_mul_f32_e32 v64, 0x3eb8f4ab, v11
	v_add_f32_e32 v63, v63, v65
	v_fma_f32 v65, v10, s14, -v64
	v_fmac_f32_e32 v64, 0x3f6eb680, v10
	v_mul_f32_e32 v69, 0xbf65296c, v11
	v_add_f32_e32 v64, v64, v71
	v_fma_f32 v70, v10, s1, -v69
	v_fmac_f32_e32 v69, 0x3ee437d1, v10
	v_mul_f32_e32 v71, 0xbf06c442, v11
	v_add_f32_e32 v65, v65, v72
	v_add_f32_e32 v69, v69, v73
	v_fma_f32 v72, v10, s16, -v71
	v_fmac_f32_e32 v71, 0xbf59a7d5, v10
	v_mul_f32_e32 v73, 0x3f4c4adb, v11
	v_mul_f32_e32 v11, 0x3f2c7751, v11
	v_add_f32_e32 v71, v71, v75
	v_mov_b32_e32 v75, v11
	v_add_f32_e32 v70, v70, v74
	v_fma_f32 v74, v10, s15, -v73
	v_fmac_f32_e32 v73, 0xbf1a4643, v10
	v_fmac_f32_e32 v75, 0x3f3d2fb0, v10
	v_fma_f32 v10, v10, s8, -v11
	v_sub_f32_e32 v11, v66, v61
	v_add_f32_e32 v6, v10, v6
	v_add_f32_e32 v10, v68, v12
	v_mul_f32_e32 v12, 0xbf763a35, v11
	v_fma_f32 v61, v10, s9, -v12
	v_fmac_f32_e32 v12, 0xbe8c1d8e, v10
	v_add_f32_e32 v12, v12, v13
	v_add_f32_e32 v13, v61, v56
	v_mul_f32_e32 v56, 0x3f06c442, v11
	v_fma_f32 v61, v10, s16, -v56
	v_fmac_f32_e32 v56, 0xbf59a7d5, v10
	;; [unrolled: 5-line block ×4, first 2 shown]
	v_add_f32_e32 v61, v61, v64
	v_mul_f32_e32 v64, 0xbe3c28d5, v11
	v_add_f32_e32 v63, v63, v65
	v_fma_f32 v65, v10, s17, -v64
	v_fmac_f32_e32 v64, 0xbf7ba420, v10
	v_mul_f32_e32 v66, 0x3f7ee86f, v11
	v_add_f32_e32 v64, v64, v69
	v_fma_f32 v68, v10, s0, -v66
	v_fmac_f32_e32 v66, 0x3dbcf732, v10
	v_mul_f32_e32 v69, 0xbeb8f4ab, v11
	v_mul_f32_e32 v11, 0xbf4c4adb, v11
	v_add_f32_e32 v66, v66, v71
	v_mov_b32_e32 v71, v11
	v_add_f32_e32 v65, v65, v70
	v_fma_f32 v70, v10, s14, -v69
	v_fmac_f32_e32 v69, 0x3f6eb680, v10
	v_fmac_f32_e32 v71, 0xbf1a4643, v10
	v_fma_f32 v10, v10, s15, -v11
	v_sub_f32_e32 v11, v54, v60
	v_add_f32_e32 v6, v10, v6
	v_add_f32_e32 v10, v55, v62
	v_mul_f32_e32 v54, 0xbf4c4adb, v11
	v_fma_f32 v55, v10, s15, -v54
	v_fmac_f32_e32 v54, 0xbf1a4643, v10
	v_add_f32_e32 v12, v54, v12
	v_mul_f32_e32 v54, 0x3f763a35, v11
	v_add_f32_e32 v13, v55, v13
	v_fma_f32 v55, v10, s9, -v54
	v_fmac_f32_e32 v54, 0xbe8c1d8e, v10
	v_add_f32_e32 v54, v54, v56
	v_mul_f32_e32 v56, 0xbeb8f4ab, v11
	v_add_f32_e32 v55, v55, v57
	;; [unrolled: 5-line block ×3, first 2 shown]
	v_fma_f32 v59, v10, s16, -v58
	v_fmac_f32_e32 v58, 0xbf59a7d5, v10
	v_mul_f32_e32 v60, 0x3f7ee86f, v11
	v_add_f32_e32 v58, v58, v61
	v_fma_f32 v61, v10, s0, -v60
	v_fmac_f32_e32 v60, 0x3dbcf732, v10
	v_mul_f32_e32 v62, 0xbf2c7751, v11
	v_add_f32_e32 v59, v59, v63
	v_add_f32_e32 v60, v60, v64
	v_fma_f32 v63, v10, s8, -v62
	v_fmac_f32_e32 v62, 0x3f3d2fb0, v10
	v_mul_f32_e32 v64, 0xbe3c28d5, v11
	v_mul_f32_e32 v11, 0x3f65296c, v11
	v_add_f32_e32 v62, v62, v66
	v_mov_b32_e32 v66, v11
	v_add_f32_e32 v61, v61, v65
	v_fma_f32 v65, v10, s17, -v64
	v_fmac_f32_e32 v64, 0xbf7ba420, v10
	v_fmac_f32_e32 v66, 0x3ee437d1, v10
	v_fma_f32 v10, v10, s1, -v11
	v_sub_f32_e32 v11, v41, v53
	v_add_f32_e32 v6, v10, v6
	v_add_f32_e32 v10, v42, v14
	v_mul_f32_e32 v14, 0xbf06c442, v11
	v_fma_f32 v41, v10, s16, -v14
	v_fmac_f32_e32 v14, 0xbf59a7d5, v10
	v_add_f32_e32 v12, v14, v12
	v_mul_f32_e32 v14, 0x3f65296c, v11
	v_add_f32_e32 v13, v41, v13
	v_fma_f32 v41, v10, s1, -v14
	v_fmac_f32_e32 v14, 0x3ee437d1, v10
	v_mul_f32_e32 v42, 0xbf7ee86f, v11
	v_add_f32_e32 v14, v14, v54
	v_fma_f32 v53, v10, s0, -v42
	v_fmac_f32_e32 v42, 0x3dbcf732, v10
	v_mul_f32_e32 v54, 0x3f4c4adb, v11
	v_add_f32_e32 v41, v41, v55
	v_add_f32_e32 v42, v42, v56
	v_fma_f32 v55, v10, s15, -v54
	v_fmac_f32_e32 v54, 0xbf1a4643, v10
	v_mul_f32_e32 v56, 0xbeb8f4ab, v11
	v_add_f32_e32 v53, v53, v57
	;; [unrolled: 5-line block ×3, first 2 shown]
	v_add_f32_e32 v56, v56, v60
	v_fma_f32 v59, v10, s17, -v58
	v_fmac_f32_e32 v58, 0xbf7ba420, v10
	v_mul_f32_e32 v60, 0x3f2c7751, v11
	v_mul_f32_e32 v11, 0xbf763a35, v11
	v_add_f32_e32 v58, v58, v62
	v_mov_b32_e32 v62, v11
	v_add_f32_e32 v57, v57, v61
	v_fma_f32 v61, v10, s8, -v60
	v_fmac_f32_e32 v60, 0x3f3d2fb0, v10
	v_fmac_f32_e32 v62, 0xbe8c1d8e, v10
	v_fma_f32 v10, v10, s9, -v11
	v_sub_f32_e32 v7, v7, v32
	v_add_f32_e32 v6, v10, v6
	v_add_f32_e32 v9, v9, v33
	v_mul_f32_e32 v10, 0xbe3c28d5, v7
	v_fma_f32 v11, v9, s17, -v10
	v_fmac_f32_e32 v10, 0xbf7ba420, v9
	v_add_f32_e32 v10, v10, v12
	v_mul_f32_e32 v12, 0x3eb8f4ab, v7
	v_add_f32_e32 v11, v11, v13
	v_fma_f32 v13, v9, s14, -v12
	v_fmac_f32_e32 v12, 0x3f6eb680, v9
	v_add_f32_e32 v12, v12, v14
	v_mul_f32_e32 v14, 0xbf06c442, v7
	v_fma_f32 v32, v9, s16, -v14
	v_fmac_f32_e32 v14, 0xbf59a7d5, v9
	v_mul_f32_e32 v33, 0x3f2c7751, v7
	v_add_f32_e32 v13, v13, v41
	v_add_f32_e32 v14, v14, v42
	v_fma_f32 v41, v9, s8, -v33
	v_fmac_f32_e32 v33, 0x3f3d2fb0, v9
	v_mul_f32_e32 v42, 0xbf4c4adb, v7
	v_add_f32_e32 v32, v32, v53
	v_add_f32_e32 v33, v33, v54
	;; [unrolled: 5-line block ×3, first 2 shown]
	v_add_f32_e32 v42, v42, v56
	v_fma_f32 v55, v9, s1, -v54
	v_fmac_f32_e32 v54, 0x3ee437d1, v9
	v_mul_f32_e32 v56, 0xbf763a35, v7
	v_mul_f32_e32 v7, 0x3f7ee86f, v7
	v_add_f32_e32 v87, v87, v91
	v_add_f32_e32 v89, v89, v93
	;; [unrolled: 1-line block ×5, first 2 shown]
	v_mov_b32_e32 v58, v7
	v_fma_f32 v7, v9, s0, -v7
	v_add_f32_e32 v76, v76, v87
	v_add_f32_e32 v85, v85, v89
	;; [unrolled: 1-line block ×5, first 2 shown]
	v_mov_b32_e32 v7, 2
	v_add_f32_e32 v72, v72, v76
	v_add_f32_e32 v74, v74, v85
	v_add_f32_e32 v75, v75, v86
	v_add_f32_e32 v69, v69, v73
	v_lshlrev_b32_sdwa v7, v7, v34 dst_sel:DWORD dst_unused:UNUSED_PAD src0_sel:DWORD src1_sel:BYTE_0
	v_add_f32_e32 v68, v68, v72
	v_add_f32_e32 v70, v70, v74
	;; [unrolled: 1-line block ×4, first 2 shown]
	v_add3_u32 v7, 0, v7, v129
	v_add_f32_e32 v63, v63, v68
	v_add_f32_e32 v65, v65, v70
	;; [unrolled: 1-line block ×5, first 2 shown]
	v_fma_f32 v57, v9, s9, -v56
	v_fmac_f32_e32 v56, 0xbe8c1d8e, v9
	v_fmac_f32_e32 v58, 0x3dbcf732, v9
	v_add_u32_e32 v9, 0x400, v7
	v_add_f32_e32 v59, v59, v63
	v_add_f32_e32 v61, v61, v65
	;; [unrolled: 1-line block ×4, first 2 shown]
	ds_write2_b32 v9, v8, v10 offset0:220 offset1:227
	ds_write2_b32 v9, v12, v14 offset0:234 offset1:241
	;; [unrolled: 1-line block ×3, first 2 shown]
	v_add_u32_e32 v8, 0x800, v7
	v_add_f32_e32 v55, v55, v59
	v_add_f32_e32 v57, v57, v61
	;; [unrolled: 1-line block ×3, first 2 shown]
	ds_write2_b32 v8, v54, v56 offset0:6 offset1:13
	ds_write2_b32 v8, v58, v6 offset0:20 offset1:27
	ds_write2_b32 v8, v57, v55 offset0:34 offset1:41
	ds_write2_b32 v8, v53, v41 offset0:48 offset1:55
	ds_write2_b32 v8, v32, v13 offset0:62 offset1:69
	ds_write_b32 v7, v11 offset:2352
.LBB0_20:
	s_or_b64 exec, exec, s[6:7]
	s_waitcnt lgkmcnt(0)
	; wave barrier
	s_waitcnt lgkmcnt(0)
	s_and_saveexec_b64 s[0:1], vcc
	s_cbranch_execz .LBB0_22
; %bb.21:
	v_add_u32_e32 v61, 0x198, v5
	v_mov_b32_e32 v62, 0
	v_lshlrev_b64 v[6:7], 3, v[61:62]
	v_mov_b32_e32 v71, s13
	v_add_co_u32_e32 v32, vcc, s12, v6
	v_addc_co_u32_e32 v33, vcc, v71, v7, vcc
	global_load_dwordx4 v[6:9], v[32:33], off offset:896
	global_load_dwordx4 v[10:13], v[32:33], off offset:912
	v_add_u32_e32 v61, 0x154, v5
	v_mul_lo_u32 v14, s5, v3
	v_mul_lo_u32 v32, s4, v4
	v_mad_u64_u32 v[41:42], s[0:1], s4, v3, 0
	v_lshlrev_b64 v[3:4], 3, v[61:62]
	ds_read2_b32 v[54:55], v104 offset0:221 offset1:238
	v_add_co_u32_e32 v3, vcc, s12, v3
	v_addc_co_u32_e32 v4, vcc, v71, v4, vcc
	v_add_u32_e32 v73, 0x400, v104
	v_add_u32_e32 v70, 0x800, v104
	ds_read2_b32 v[59:60], v104 offset0:85 offset1:102
	ds_read2_b32 v[33:34], v73 offset0:67 offset1:84
	;; [unrolled: 1-line block ×4, first 2 shown]
	global_load_dwordx4 v[63:66], v[3:4], off offset:912
	global_load_dwordx4 v[84:87], v[3:4], off offset:896
	v_add3_u32 v42, v42, v32, v14
	s_mov_b32 s0, 0x44d72045
	s_movk_i32 s1, 0x77
	v_lshlrev_b64 v[41:42], 3, v[41:42]
	s_waitcnt vmcnt(3)
	v_mul_f32_e32 v3, v19, v7
	v_mul_f32_e32 v4, v30, v9
	s_waitcnt vmcnt(2)
	v_mul_f32_e32 v14, v28, v13
	v_mul_f32_e32 v32, v17, v11
	s_waitcnt lgkmcnt(2)
	v_mul_f32_e32 v9, v34, v9
	s_waitcnt lgkmcnt(0)
	v_mul_f32_e32 v11, v57, v11
	v_mul_f32_e32 v7, v54, v7
	;; [unrolled: 1-line block ×3, first 2 shown]
	v_fmac_f32_e32 v3, v54, v6
	v_fmac_f32_e32 v4, v34, v8
	;; [unrolled: 1-line block ×4, first 2 shown]
	v_fma_f32 v9, v30, v8, -v9
	v_fma_f32 v17, v17, v10, -v11
	;; [unrolled: 1-line block ×4, first 2 shown]
	v_sub_f32_e32 v7, v3, v4
	v_sub_f32_e32 v8, v14, v32
	v_add_f32_e32 v61, v3, v14
	v_add_f32_e32 v10, v4, v32
	v_sub_f32_e32 v11, v6, v9
	v_sub_f32_e32 v30, v13, v17
	v_add_f32_e32 v34, v9, v17
	v_sub_f32_e32 v53, v3, v14
	v_sub_f32_e32 v56, v4, v3
	v_add_f32_e32 v74, v6, v13
	v_add_f32_e32 v3, v3, v60
	;; [unrolled: 1-line block ×3, first 2 shown]
	v_fma_f32 v8, -0.5, v61, v60
	v_sub_f32_e32 v19, v9, v17
	v_sub_f32_e32 v28, v6, v13
	;; [unrolled: 1-line block ×3, first 2 shown]
	v_add_f32_e32 v6, v36, v6
	v_fma_f32 v12, -0.5, v10, v60
	v_add_f32_e32 v76, v11, v30
	v_fma_f32 v11, -0.5, v34, v36
	v_fma_f32 v7, -0.5, v74, v36
	v_add_f32_e32 v36, v4, v3
	v_mov_b32_e32 v10, v8
	v_sub_f32_e32 v54, v4, v32
	v_sub_f32_e32 v57, v32, v14
	v_add_f32_e32 v32, v32, v36
	v_fmac_f32_e32 v10, 0x3f737871, v19
	v_fmac_f32_e32 v8, 0xbf737871, v19
	v_add_f32_e32 v30, v56, v57
	v_add_f32_e32 v14, v14, v32
	v_fmac_f32_e32 v10, 0xbf167918, v28
	v_fmac_f32_e32 v8, 0x3f167918, v28
	v_mov_b32_e32 v32, v62
	v_fmac_f32_e32 v10, 0x3e9e377a, v30
	v_fmac_f32_e32 v8, 0x3e9e377a, v30
	v_lshlrev_b64 v[30:31], 3, v[31:32]
	ds_read2_b32 v[56:57], v104 offset0:187 offset1:204
	v_add_co_u32_e32 v30, vcc, s12, v30
	v_addc_co_u32_e32 v31, vcc, v71, v31, vcc
	global_load_dwordx4 v[88:91], v[30:31], off offset:912
	global_load_dwordx4 v[92:95], v[30:31], off offset:896
	ds_read2_b32 v[60:61], v73 offset0:169 offset1:186
	v_add_f32_e32 v6, v6, v9
	v_mov_b32_e32 v9, v7
	v_mov_b32_e32 v3, v11
	v_fmac_f32_e32 v9, 0xbf737871, v54
	v_add_f32_e32 v6, v6, v17
	v_fmac_f32_e32 v7, 0x3f737871, v54
	v_sub_f32_e32 v72, v17, v13
	v_mov_b32_e32 v4, v12
	v_fmac_f32_e32 v3, 0xbf737871, v53
	v_fmac_f32_e32 v9, 0x3f167918, v53
	v_add_f32_e32 v13, v13, v6
	v_fmac_f32_e32 v7, 0xbf167918, v53
	v_fmac_f32_e32 v11, 0x3f737871, v53
	s_waitcnt vmcnt(2)
	v_mul_f32_e32 v6, v44, v85
	v_mul_f32_e32 v17, v29, v87
	v_mul_f32_e32 v36, v27, v66
	v_mul_f32_e32 v53, v51, v64
	v_fmac_f32_e32 v4, 0x3f737871, v28
	v_fmac_f32_e32 v12, 0xbf737871, v28
	s_waitcnt lgkmcnt(1)
	v_fmac_f32_e32 v6, v57, v84
	v_fmac_f32_e32 v17, v33, v86
	;; [unrolled: 1-line block ×3, first 2 shown]
	s_waitcnt lgkmcnt(0)
	v_fmac_f32_e32 v53, v61, v63
	v_fmac_f32_e32 v4, 0x3f167918, v19
	;; [unrolled: 1-line block ×3, first 2 shown]
	v_sub_f32_e32 v19, v6, v17
	v_sub_f32_e32 v28, v36, v53
	v_add_f32_e32 v19, v19, v28
	v_mul_f32_e32 v28, v33, v87
	v_fmac_f32_e32 v3, 0xbf167918, v54
	v_fmac_f32_e32 v11, 0x3f167918, v54
	v_fma_f32 v54, v29, v86, -v28
	v_mul_f32_e32 v28, v61, v64
	v_fma_f32 v51, v51, v63, -v28
	v_mul_f32_e32 v28, v57, v85
	v_fma_f32 v44, v44, v84, -v28
	v_mul_f32_e32 v28, v68, v66
	v_fma_f32 v57, v27, v65, -v28
	v_add_f32_e32 v27, v17, v53
	v_fma_f32 v32, -0.5, v27, v59
	v_sub_f32_e32 v27, v44, v54
	v_sub_f32_e32 v29, v57, v51
	v_add_f32_e32 v64, v27, v29
	v_sub_f32_e32 v29, v17, v6
	v_sub_f32_e32 v30, v53, v36
	;; [unrolled: 1-line block ×3, first 2 shown]
	v_add_f32_e32 v68, v29, v30
	v_add_f32_e32 v29, v6, v36
	;; [unrolled: 1-line block ×6, first 2 shown]
	v_fmac_f32_e32 v9, 0x3e9e377a, v34
	v_fmac_f32_e32 v7, 0x3e9e377a, v34
	v_fma_f32 v34, -0.5, v29, v59
	v_sub_f32_e32 v29, v54, v44
	v_sub_f32_e32 v33, v51, v57
	v_add_f32_e32 v36, v36, v6
	v_add_f32_e32 v6, v35, v44
	;; [unrolled: 1-line block ×3, first 2 shown]
	v_sub_f32_e32 v66, v17, v53
	v_add_f32_e32 v69, v29, v33
	v_add_f32_e32 v29, v44, v57
	;; [unrolled: 1-line block ×3, first 2 shown]
	v_mov_b32_e32 v53, v62
	v_sub_f32_e32 v61, v54, v51
	v_fma_f32 v31, -0.5, v27, v35
	v_fma_f32 v33, -0.5, v29, v35
	v_add_f32_e32 v6, v6, v51
	v_lshlrev_b64 v[51:52], 3, v[52:53]
	v_mov_b32_e32 v27, v31
	v_mov_b32_e32 v30, v34
	;; [unrolled: 1-line block ×3, first 2 shown]
	v_sub_f32_e32 v63, v44, v57
	v_fmac_f32_e32 v27, 0xbf737871, v65
	v_fmac_f32_e32 v30, 0xbf737871, v61
	;; [unrolled: 1-line block ×6, first 2 shown]
	v_add_co_u32_e32 v51, vcc, s12, v51
	v_mov_b32_e32 v28, v32
	v_fmac_f32_e32 v27, 0xbf167918, v66
	v_fmac_f32_e32 v30, 0x3f167918, v63
	;; [unrolled: 1-line block ×6, first 2 shown]
	v_addc_co_u32_e32 v52, vcc, v71, v52, vcc
	v_fmac_f32_e32 v4, 0x3e9e377a, v75
	v_fmac_f32_e32 v12, 0x3e9e377a, v75
	;; [unrolled: 1-line block ×10, first 2 shown]
	ds_read2_b32 v[68:69], v73 offset0:33 offset1:50
	global_load_dwordx4 v[63:66], v[51:52], off offset:912
	global_load_dwordx4 v[84:87], v[51:52], off offset:896
	ds_read2_b32 v[74:75], v70 offset0:15 offset1:32
	v_fmac_f32_e32 v28, 0x3f167918, v61
	v_add_f32_e32 v35, v57, v6
	v_fmac_f32_e32 v32, 0xbf167918, v61
	s_waitcnt vmcnt(2)
	v_mul_f32_e32 v6, v43, v93
	v_mul_f32_e32 v17, v48, v95
	;; [unrolled: 1-line block ×4, first 2 shown]
	v_fmac_f32_e32 v6, v56, v92
	s_waitcnt lgkmcnt(1)
	v_fmac_f32_e32 v17, v69, v94
	s_waitcnt lgkmcnt(0)
	v_fmac_f32_e32 v59, v75, v90
	v_fmac_f32_e32 v61, v60, v88
	;; [unrolled: 1-line block ×4, first 2 shown]
	v_sub_f32_e32 v19, v6, v17
	v_sub_f32_e32 v44, v59, v61
	v_add_f32_e32 v19, v19, v44
	v_mul_f32_e32 v44, v69, v95
	ds_read_b32 v70, v83
	ds_read_b32 v82, v82
	v_fma_f32 v48, v48, v94, -v44
	v_mul_f32_e32 v44, v60, v89
	v_fma_f32 v50, v50, v88, -v44
	v_mul_f32_e32 v44, v56, v93
	;; [unrolled: 2-line block ×3, first 2 shown]
	v_fma_f32 v46, v46, v90, -v43
	v_add_f32_e32 v43, v17, v61
	s_waitcnt lgkmcnt(1)
	v_fma_f32 v54, -0.5, v43, v70
	v_sub_f32_e32 v43, v69, v48
	v_sub_f32_e32 v51, v46, v50
	v_add_f32_e32 v75, v43, v51
	v_sub_f32_e32 v51, v17, v6
	v_sub_f32_e32 v52, v61, v59
	v_fmac_f32_e32 v3, 0x3e9e377a, v76
	v_fmac_f32_e32 v11, 0x3e9e377a, v76
	v_sub_f32_e32 v76, v6, v59
	v_add_f32_e32 v88, v51, v52
	v_add_f32_e32 v51, v6, v59
	;; [unrolled: 1-line block ×3, first 2 shown]
	v_sub_f32_e32 v72, v69, v46
	v_mov_b32_e32 v44, v54
	v_fma_f32 v57, -0.5, v51, v70
	v_add_f32_e32 v6, v17, v6
	v_sub_f32_e32 v60, v48, v50
	v_fmac_f32_e32 v44, 0x3f737871, v72
	v_mov_b32_e32 v52, v57
	v_fmac_f32_e32 v54, 0xbf737871, v72
	v_add_f32_e32 v6, v61, v6
	v_fmac_f32_e32 v44, 0x3f167918, v60
	v_fmac_f32_e32 v52, 0xbf737871, v60
	;; [unrolled: 1-line block ×4, first 2 shown]
	v_add_f32_e32 v60, v59, v6
	v_add_f32_e32 v6, v81, v69
	v_sub_f32_e32 v51, v48, v69
	v_sub_f32_e32 v56, v50, v46
	v_add_f32_e32 v6, v6, v48
	v_add_f32_e32 v43, v48, v50
	;; [unrolled: 1-line block ×5, first 2 shown]
	v_mov_b32_e32 v50, v62
	v_fma_f32 v56, -0.5, v51, v81
	v_lshlrev_b64 v[48:49], 3, v[49:50]
	v_sub_f32_e32 v83, v17, v61
	v_mov_b32_e32 v51, v56
	v_fmac_f32_e32 v51, 0x3f737871, v83
	v_fmac_f32_e32 v56, 0xbf737871, v83
	v_add_co_u32_e32 v48, vcc, s12, v48
	v_fmac_f32_e32 v52, 0x3f167918, v72
	v_fmac_f32_e32 v51, 0xbf167918, v76
	;; [unrolled: 1-line block ×4, first 2 shown]
	v_addc_co_u32_e32 v49, vcc, v71, v49, vcc
	v_fmac_f32_e32 v52, 0x3e9e377a, v88
	v_fmac_f32_e32 v51, 0x3e9e377a, v89
	;; [unrolled: 1-line block ×4, first 2 shown]
	ds_read2_b32 v[69:70], v104 offset0:153 offset1:170
	global_load_dwordx4 v[88:91], v[48:49], off offset:912
	global_load_dwordx4 v[92:95], v[48:49], off offset:896
	v_fma_f32 v53, -0.5, v43, v81
	v_mov_b32_e32 v43, v53
	v_fmac_f32_e32 v43, 0xbf737871, v76
	v_fmac_f32_e32 v53, 0x3f737871, v76
	;; [unrolled: 1-line block ×6, first 2 shown]
	ds_read2_b32 v[75:76], v73 offset0:135 offset1:152
	v_add_f32_e32 v59, v46, v6
	s_waitcnt vmcnt(2)
	v_mul_f32_e32 v6, v38, v85
	v_mul_f32_e32 v17, v47, v87
	;; [unrolled: 1-line block ×4, first 2 shown]
	s_waitcnt lgkmcnt(1)
	v_fmac_f32_e32 v6, v70, v84
	v_fmac_f32_e32 v17, v68, v86
	;; [unrolled: 1-line block ×3, first 2 shown]
	s_waitcnt lgkmcnt(0)
	v_fmac_f32_e32 v72, v76, v63
	v_fmac_f32_e32 v44, 0x3e9e377a, v19
	;; [unrolled: 1-line block ×3, first 2 shown]
	v_sub_f32_e32 v19, v6, v17
	v_sub_f32_e32 v46, v61, v72
	v_add_f32_e32 v19, v19, v46
	v_mul_f32_e32 v46, v68, v87
	v_fma_f32 v68, v47, v86, -v46
	v_mul_f32_e32 v46, v76, v64
	v_fma_f32 v40, v40, v63, -v46
	;; [unrolled: 2-line block ×4, first 2 shown]
	v_add_f32_e32 v45, v17, v72
	v_fma_f32 v50, -0.5, v45, v82
	v_sub_f32_e32 v45, v38, v68
	v_sub_f32_e32 v47, v65, v40
	v_add_f32_e32 v70, v45, v47
	v_sub_f32_e32 v47, v17, v6
	v_sub_f32_e32 v48, v72, v61
	v_add_f32_e32 v83, v47, v48
	v_add_f32_e32 v47, v6, v61
	ds_read_b32 v74, v80
	v_sub_f32_e32 v80, v6, v61
	v_fma_f32 v64, -0.5, v47, v82
	v_add_f32_e32 v6, v6, v82
	v_sub_f32_e32 v76, v68, v40
	v_mov_b32_e32 v48, v64
	v_add_f32_e32 v6, v17, v6
	v_sub_f32_e32 v66, v38, v65
	v_mov_b32_e32 v46, v50
	v_fmac_f32_e32 v48, 0xbf737871, v76
	v_fmac_f32_e32 v64, 0x3f737871, v76
	v_add_f32_e32 v6, v72, v6
	v_fmac_f32_e32 v46, 0x3f737871, v66
	v_fmac_f32_e32 v48, 0x3f167918, v66
	;; [unrolled: 1-line block ×4, first 2 shown]
	v_add_f32_e32 v66, v61, v6
	v_add_f32_e32 v6, v67, v38
	;; [unrolled: 1-line block ×3, first 2 shown]
	v_sub_f32_e32 v47, v68, v38
	v_sub_f32_e32 v63, v40, v65
	v_add_f32_e32 v6, v6, v40
	v_add_f32_e32 v84, v47, v63
	;; [unrolled: 1-line block ×4, first 2 shown]
	v_add_u32_e32 v6, 0x200, v104
	ds_read2_b32 v[96:97], v6 offset0:127 offset1:144
	ds_read2_b32 v[98:99], v73 offset0:237 offset1:254
	v_add_f32_e32 v45, v68, v40
	v_lshlrev_b32_e32 v61, 2, v125
	v_fma_f32 v49, -0.5, v45, v67
	v_sub_f32_e32 v81, v17, v72
	v_fma_f32 v63, -0.5, v47, v67
	v_lshlrev_b64 v[67:68], 3, v[61:62]
	v_fmac_f32_e32 v46, 0x3f167918, v76
	v_fmac_f32_e32 v50, 0xbf167918, v76
	;; [unrolled: 1-line block ×4, first 2 shown]
	s_waitcnt vmcnt(1)
	v_mul_f32_e32 v72, v24, v91
	s_waitcnt vmcnt(0)
	v_mul_f32_e32 v6, v37, v93
	v_mul_f32_e32 v17, v26, v95
	;; [unrolled: 1-line block ×3, first 2 shown]
	v_fmac_f32_e32 v6, v69, v92
	s_waitcnt lgkmcnt(1)
	v_fmac_f32_e32 v17, v97, v94
	s_waitcnt lgkmcnt(0)
	v_fmac_f32_e32 v72, v99, v90
	v_fmac_f32_e32 v61, v75, v88
	v_sub_f32_e32 v19, v6, v17
	v_sub_f32_e32 v38, v72, v61
	v_add_f32_e32 v19, v19, v38
	v_mul_f32_e32 v38, v97, v95
	v_fma_f32 v26, v26, v94, -v38
	v_mul_f32_e32 v38, v75, v89
	v_mov_b32_e32 v47, v63
	v_fma_f32 v75, v39, v88, -v38
	v_mul_f32_e32 v38, v69, v93
	v_mov_b32_e32 v45, v49
	v_fmac_f32_e32 v47, 0x3f737871, v81
	v_fmac_f32_e32 v63, 0xbf737871, v81
	v_add_co_u32_e32 v67, vcc, s12, v67
	v_fma_f32 v76, v37, v92, -v38
	v_mul_f32_e32 v37, v99, v91
	v_fmac_f32_e32 v45, 0xbf737871, v80
	v_fmac_f32_e32 v47, 0xbf167918, v80
	v_fmac_f32_e32 v63, 0x3f167918, v80
	v_fmac_f32_e32 v49, 0x3f737871, v80
	v_addc_co_u32_e32 v68, vcc, v71, v68, vcc
	v_fma_f32 v24, v24, v90, -v37
	v_add_f32_e32 v37, v17, v61
	v_fmac_f32_e32 v45, 0xbf167918, v81
	v_fmac_f32_e32 v48, 0x3e9e377a, v83
	;; [unrolled: 1-line block ×6, first 2 shown]
	global_load_dwordx4 v[80:83], v[67:68], off offset:912
	global_load_dwordx4 v[84:87], v[67:68], off offset:896
	v_fma_f32 v68, -0.5, v37, v74
	v_sub_f32_e32 v37, v76, v26
	v_sub_f32_e32 v40, v24, v75
	v_add_f32_e32 v40, v37, v40
	v_add_f32_e32 v37, v26, v75
	v_fma_f32 v67, -0.5, v37, v79
	v_sub_f32_e32 v69, v76, v24
	v_mov_b32_e32 v38, v68
	v_sub_f32_e32 v88, v6, v72
	v_mov_b32_e32 v37, v67
	v_sub_f32_e32 v39, v26, v75
	v_fmac_f32_e32 v38, 0x3f737871, v69
	v_fmac_f32_e32 v37, 0xbf737871, v88
	v_sub_f32_e32 v89, v17, v61
	v_fmac_f32_e32 v68, 0xbf737871, v69
	v_fmac_f32_e32 v67, 0x3f737871, v88
	;; [unrolled: 1-line block ×10, first 2 shown]
	v_sub_f32_e32 v19, v17, v6
	v_sub_f32_e32 v40, v61, v72
	v_add_f32_e32 v19, v19, v40
	v_add_f32_e32 v40, v6, v72
	;; [unrolled: 1-line block ×4, first 2 shown]
	v_fmac_f32_e32 v45, 0x3e9e377a, v70
	v_fmac_f32_e32 v49, 0x3e9e377a, v70
	v_fma_f32 v70, -0.5, v40, v74
	v_add_f32_e32 v6, v61, v6
	v_mov_b32_e32 v40, v70
	v_add_f32_e32 v72, v72, v6
	v_sub_f32_e32 v6, v26, v76
	v_sub_f32_e32 v17, v75, v24
	v_fmac_f32_e32 v40, 0xbf737871, v39
	v_fmac_f32_e32 v70, 0x3f737871, v39
	v_add_f32_e32 v6, v6, v17
	v_add_f32_e32 v17, v76, v24
	v_fmac_f32_e32 v40, 0x3f167918, v69
	v_fmac_f32_e32 v70, 0xbf167918, v69
	v_fma_f32 v69, -0.5, v17, v79
	v_mov_b32_e32 v39, v69
	v_fmac_f32_e32 v39, 0x3f737871, v89
	v_fmac_f32_e32 v69, 0xbf737871, v89
	v_fmac_f32_e32 v39, 0xbf167918, v88
	v_fmac_f32_e32 v69, 0x3f167918, v88
	v_fmac_f32_e32 v39, 0x3e9e377a, v6
	v_fmac_f32_e32 v69, 0x3e9e377a, v6
	v_add_f32_e32 v6, v79, v76
	v_add_f32_e32 v6, v6, v26
	;; [unrolled: 1-line block ×3, first 2 shown]
	v_mov_b32_e32 v6, v62
	v_lshlrev_b64 v[5:6], 3, v[5:6]
	ds_read_b32 v97, v118
	v_add_co_u32_e32 v5, vcc, s12, v5
	v_addc_co_u32_e32 v6, vcc, v71, v6, vcc
	ds_read2_b32 v[74:75], v104 offset0:119 offset1:136
	global_load_dwordx4 v[88:91], v[5:6], off offset:912
	global_load_dwordx4 v[92:95], v[5:6], off offset:896
	ds_read2_b32 v[5:6], v73 offset0:101 offset1:118
	v_fmac_f32_e32 v40, 0x3e9e377a, v19
	v_fmac_f32_e32 v70, 0x3e9e377a, v19
	v_add_f32_e32 v71, v24, v17
	ds_read_b32 v0, v0
	s_waitcnt vmcnt(3)
	v_mul_f32_e32 v73, v23, v83
	s_waitcnt vmcnt(2)
	v_mul_f32_e32 v19, v16, v85
	v_mul_f32_e32 v26, v25, v87
	;; [unrolled: 1-line block ×3, first 2 shown]
	s_waitcnt lgkmcnt(2)
	v_fmac_f32_e32 v19, v75, v84
	v_fmac_f32_e32 v26, v96, v86
	;; [unrolled: 1-line block ×3, first 2 shown]
	s_waitcnt lgkmcnt(1)
	v_fmac_f32_e32 v76, v6, v80
	v_sub_f32_e32 v17, v19, v26
	v_sub_f32_e32 v24, v73, v76
	v_add_f32_e32 v79, v17, v24
	v_mul_f32_e32 v17, v96, v87
	v_fma_f32 v86, v25, v86, -v17
	v_mul_f32_e32 v17, v75, v85
	v_sub_f32_e32 v24, v26, v19
	v_sub_f32_e32 v25, v76, v73
	v_fma_f32 v75, v16, v84, -v17
	v_sub_f32_e32 v84, v19, v73
	v_add_f32_e32 v87, v24, v25
	v_add_f32_e32 v24, v19, v73
	;; [unrolled: 1-line block ×3, first 2 shown]
	v_mul_f32_e32 v16, v98, v83
	v_add_f32_e32 v19, v26, v19
	v_mul_f32_e32 v6, v6, v81
	v_fma_f32 v81, v23, v82, -v16
	v_add_f32_e32 v16, v26, v76
	v_add_f32_e32 v19, v76, v19
	v_fma_f32 v6, v22, v80, -v6
	v_fma_f32 v17, -0.5, v16, v97
	v_sub_f32_e32 v85, v26, v76
	v_add_f32_e32 v76, v73, v19
	v_add_f32_e32 v19, v78, v75
	v_sub_f32_e32 v82, v75, v81
	v_mov_b32_e32 v23, v17
	v_sub_f32_e32 v16, v75, v86
	v_sub_f32_e32 v22, v81, v6
	v_fma_f32 v25, -0.5, v24, v97
	v_sub_f32_e32 v24, v86, v75
	v_sub_f32_e32 v61, v6, v81
	v_add_f32_e32 v19, v19, v86
	v_sub_f32_e32 v80, v86, v6
	v_fmac_f32_e32 v23, 0x3f737871, v82
	v_add_f32_e32 v83, v16, v22
	v_add_f32_e32 v16, v86, v6
	v_mov_b32_e32 v62, v25
	v_add_f32_e32 v96, v24, v61
	v_add_f32_e32 v24, v75, v81
	v_fmac_f32_e32 v17, 0xbf737871, v82
	v_add_f32_e32 v6, v19, v6
	v_fmac_f32_e32 v23, 0x3f167918, v80
	v_fma_f32 v16, -0.5, v16, v78
	v_fmac_f32_e32 v62, 0xbf737871, v80
	v_fma_f32 v24, -0.5, v24, v78
	v_fmac_f32_e32 v25, 0x3f737871, v80
	v_fmac_f32_e32 v17, 0xbf167918, v80
	v_add_f32_e32 v75, v81, v6
	v_fmac_f32_e32 v62, 0x3f167918, v82
	v_fmac_f32_e32 v25, 0xbf167918, v82
	;; [unrolled: 1-line block ×4, first 2 shown]
	v_mov_b32_e32 v22, v16
	v_mov_b32_e32 v61, v24
	v_fmac_f32_e32 v22, 0xbf737871, v84
	v_fmac_f32_e32 v61, 0x3f737871, v85
	s_waitcnt vmcnt(1)
	v_mul_f32_e32 v80, v18, v91
	s_waitcnt vmcnt(0)
	v_mul_f32_e32 v26, v15, v93
	v_mul_f32_e32 v78, v20, v95
	v_mul_f32_e32 v81, v21, v89
	v_fmac_f32_e32 v26, v74, v92
	v_fmac_f32_e32 v78, v55, v94
	;; [unrolled: 1-line block ×4, first 2 shown]
	v_mul_f32_e32 v5, v5, v89
	v_sub_f32_e32 v6, v26, v78
	v_sub_f32_e32 v19, v80, v81
	v_fma_f32 v82, v21, v88, -v5
	v_mul_f32_e32 v5, v74, v93
	v_add_f32_e32 v79, v6, v19
	v_mul_f32_e32 v6, v55, v95
	v_fma_f32 v15, v15, v92, -v5
	v_mul_f32_e32 v5, v58, v91
	v_fma_f32 v55, v20, v94, -v6
	v_fma_f32 v58, v18, v90, -v5
	v_add_f32_e32 v5, v78, v81
	v_sub_f32_e32 v20, v78, v26
	v_sub_f32_e32 v21, v81, v80
	v_fmac_f32_e32 v24, 0xbf737871, v85
	v_fmac_f32_e32 v16, 0x3f737871, v84
	s_waitcnt lgkmcnt(0)
	v_fma_f32 v6, -0.5, v5, v0
	v_add_f32_e32 v88, v20, v21
	v_add_f32_e32 v20, v26, v80
	v_fmac_f32_e32 v22, 0xbf167918, v85
	v_fmac_f32_e32 v61, 0xbf167918, v84
	;; [unrolled: 1-line block ×4, first 2 shown]
	v_sub_f32_e32 v84, v15, v58
	v_mov_b32_e32 v19, v6
	v_fma_f32 v21, -0.5, v20, v0
	v_fmac_f32_e32 v22, 0x3e9e377a, v83
	v_fmac_f32_e32 v16, 0x3e9e377a, v83
	v_sub_f32_e32 v83, v55, v82
	v_fmac_f32_e32 v19, 0x3f737871, v84
	v_mov_b32_e32 v74, v21
	v_fmac_f32_e32 v6, 0xbf737871, v84
	v_fmac_f32_e32 v19, 0x3f167918, v83
	;; [unrolled: 1-line block ×5, first 2 shown]
	v_mul_hi_u32 v83, v124, s0
	v_fmac_f32_e32 v19, 0x3e9e377a, v79
	v_fmac_f32_e32 v6, 0x3e9e377a, v79
	v_sub_f32_e32 v86, v26, v80
	v_lshrrev_b32_e32 v79, 5, v83
	v_mul_lo_u32 v79, v79, s1
	v_add_f32_e32 v0, v26, v0
	v_fmac_f32_e32 v62, 0x3e9e377a, v87
	v_fmac_f32_e32 v25, 0x3e9e377a, v87
	v_sub_u32_e32 v26, v124, v79
	v_sub_f32_e32 v87, v78, v81
	v_add_f32_e32 v0, v78, v0
	v_mad_u64_u32 v[78:79], s[4:5], s2, v26, 0
	v_sub_f32_e32 v20, v55, v15
	v_sub_f32_e32 v73, v82, v58
	v_add_f32_e32 v0, v81, v0
	v_sub_f32_e32 v5, v15, v55
	v_add_f32_e32 v89, v20, v73
	v_add_f32_e32 v20, v15, v58
	;; [unrolled: 1-line block ×4, first 2 shown]
	v_mov_b32_e32 v0, v79
	v_mad_u64_u32 v[79:80], s[4:5], s3, v26, v[0:1]
	v_add_f32_e32 v0, v15, v55
	v_add_f32_e32 v0, v0, v82
	v_sub_f32_e32 v18, v58, v82
	v_add_f32_e32 v80, v58, v0
	v_mov_b32_e32 v0, s11
	v_add_co_u32_e32 v15, vcc, s10, v41
	v_add_f32_e32 v85, v5, v18
	v_add_f32_e32 v5, v55, v82
	v_addc_co_u32_e32 v55, vcc, v0, v42, vcc
	v_lshlrev_b64 v[0:1], 3, v[1:2]
	v_fma_f32 v5, -0.5, v5, v77
	v_fma_f32 v20, -0.5, v20, v77
	v_add_u32_e32 v58, 0x77, v26
	v_add_co_u32_e32 v0, vcc, v15, v0
	v_lshlrev_b64 v[77:78], 3, v[78:79]
	v_mad_u64_u32 v[41:42], s[4:5], s2, v58, 0
	v_addc_co_u32_e32 v1, vcc, v55, v1, vcc
	v_add_co_u32_e32 v77, vcc, v0, v77
	v_addc_co_u32_e32 v78, vcc, v1, v78, vcc
	v_add_u32_e32 v15, 0xee, v26
	global_store_dwordx2 v[77:78], v[80:81], off
	v_mad_u64_u32 v[77:78], s[4:5], s2, v15, 0
	v_mov_b32_e32 v2, v42
	v_mad_u64_u32 v[82:83], s[4:5], s3, v58, v[2:3]
	v_mov_b32_e32 v2, v78
	v_mad_u64_u32 v[78:79], s[4:5], s3, v15, v[2:3]
	v_add_u32_e32 v15, 0x165, v26
	v_mov_b32_e32 v42, v82
	v_mad_u64_u32 v[79:80], s[4:5], s2, v15, 0
	v_lshlrev_b64 v[41:42], 3, v[41:42]
	v_mov_b32_e32 v18, v5
	v_fmac_f32_e32 v5, 0x3f737871, v86
	v_fmac_f32_e32 v5, 0x3f167918, v87
	v_add_co_u32_e32 v41, vcc, v0, v41
	v_fmac_f32_e32 v5, 0x3e9e377a, v85
	v_addc_co_u32_e32 v42, vcc, v1, v42, vcc
	v_mov_b32_e32 v2, v80
	global_store_dwordx2 v[41:42], v[5:6], off
	v_lshlrev_b64 v[5:6], 3, v[77:78]
	v_mad_u64_u32 v[41:42], s[4:5], s3, v15, v[2:3]
	v_add_u32_e32 v15, 0x1dc, v26
	v_add_u32_e32 v26, 17, v124
	v_mov_b32_e32 v73, v20
	v_fmac_f32_e32 v20, 0xbf737871, v87
	v_mul_hi_u32 v2, v26, s0
	v_fmac_f32_e32 v21, 0xbf167918, v84
	v_fmac_f32_e32 v20, 0x3f167918, v86
	v_add_co_u32_e32 v5, vcc, v0, v5
	v_fmac_f32_e32 v21, 0x3e9e377a, v88
	v_fmac_f32_e32 v20, 0x3e9e377a, v89
	v_addc_co_u32_e32 v6, vcc, v1, v6, vcc
	global_store_dwordx2 v[5:6], v[20:21], off
	v_mov_b32_e32 v80, v41
	v_mad_u64_u32 v[20:21], s[4:5], s2, v15, 0
	v_lshlrev_b64 v[5:6], 3, v[79:80]
	v_lshrrev_b32_e32 v41, 5, v2
	v_fmac_f32_e32 v73, 0x3f737871, v87
	v_mul_lo_u32 v42, v41, s1
	v_fmac_f32_e32 v74, 0x3f167918, v84
	v_fmac_f32_e32 v73, 0xbf167918, v86
	v_add_co_u32_e32 v5, vcc, v0, v5
	v_fmac_f32_e32 v74, 0x3e9e377a, v88
	v_fmac_f32_e32 v73, 0x3e9e377a, v89
	v_addc_co_u32_e32 v6, vcc, v1, v6, vcc
	v_mov_b32_e32 v2, v21
	global_store_dwordx2 v[5:6], v[73:74], off
	v_mad_u64_u32 v[5:6], s[4:5], s3, v15, v[2:3]
	v_sub_u32_e32 v2, v26, v42
	s_movk_i32 s4, 0x253
	v_mad_u64_u32 v[41:42], s[6:7], v41, s4, v[2:3]
	v_mov_b32_e32 v21, v5
	v_lshlrev_b64 v[5:6], 3, v[20:21]
	v_mad_u64_u32 v[20:21], s[6:7], s2, v41, 0
	v_add_u32_e32 v15, 0x77, v41
	v_mad_u64_u32 v[77:78], s[6:7], s2, v15, 0
	v_fmac_f32_e32 v18, 0xbf737871, v86
	v_fmac_f32_e32 v18, 0xbf167918, v87
	v_add_co_u32_e32 v5, vcc, v0, v5
	v_mov_b32_e32 v2, v21
	v_fmac_f32_e32 v18, 0x3e9e377a, v85
	v_addc_co_u32_e32 v6, vcc, v1, v6, vcc
	v_mad_u64_u32 v[73:74], s[6:7], s3, v41, v[2:3]
	v_mov_b32_e32 v2, v78
	global_store_dwordx2 v[5:6], v[18:19], off
	v_mad_u64_u32 v[18:19], s[6:7], s3, v15, v[2:3]
	v_add_u32_e32 v15, 0xee, v41
	v_mov_b32_e32 v21, v73
	v_mov_b32_e32 v78, v18
	v_mad_u64_u32 v[18:19], s[6:7], s2, v15, 0
	v_lshlrev_b64 v[5:6], 3, v[20:21]
	v_fmac_f32_e32 v24, 0x3e9e377a, v96
	v_add_co_u32_e32 v5, vcc, v0, v5
	v_mov_b32_e32 v2, v19
	v_addc_co_u32_e32 v6, vcc, v1, v6, vcc
	v_mad_u64_u32 v[19:20], s[6:7], s3, v15, v[2:3]
	v_add_u32_e32 v15, 0x165, v41
	global_store_dwordx2 v[5:6], v[75:76], off
	v_lshlrev_b64 v[5:6], 3, v[77:78]
	v_mad_u64_u32 v[20:21], s[6:7], s2, v15, 0
	v_add_co_u32_e32 v5, vcc, v0, v5
	v_addc_co_u32_e32 v6, vcc, v1, v6, vcc
	global_store_dwordx2 v[5:6], v[16:17], off
	v_lshlrev_b64 v[5:6], 3, v[18:19]
	v_mov_b32_e32 v2, v21
	v_add_u32_e32 v18, 34, v124
	v_mad_u64_u32 v[15:16], s[6:7], s3, v15, v[2:3]
	v_mul_hi_u32 v2, v18, s0
	v_add_co_u32_e32 v5, vcc, v0, v5
	v_add_u32_e32 v17, 0x1dc, v41
	v_addc_co_u32_e32 v6, vcc, v1, v6, vcc
	v_mov_b32_e32 v21, v15
	v_mad_u64_u32 v[15:16], s[6:7], s2, v17, 0
	v_lshrrev_b32_e32 v19, 5, v2
	global_store_dwordx2 v[5:6], v[24:25], off
	v_lshlrev_b64 v[5:6], 3, v[20:21]
	v_mul_lo_u32 v20, v19, s1
	v_add_co_u32_e32 v5, vcc, v0, v5
	v_fmac_f32_e32 v61, 0x3e9e377a, v96
	v_addc_co_u32_e32 v6, vcc, v1, v6, vcc
	v_mov_b32_e32 v2, v16
	global_store_dwordx2 v[5:6], v[61:62], off
	v_mad_u64_u32 v[5:6], s[6:7], s3, v17, v[2:3]
	v_sub_u32_e32 v2, v18, v20
	v_mad_u64_u32 v[17:18], s[6:7], v19, s4, v[2:3]
	v_mov_b32_e32 v16, v5
	v_lshlrev_b64 v[5:6], 3, v[15:16]
	v_mad_u64_u32 v[15:16], s[6:7], s2, v17, 0
	v_add_u32_e32 v21, 0x77, v17
	v_add_co_u32_e32 v5, vcc, v0, v5
	v_mov_b32_e32 v2, v16
	v_mad_u64_u32 v[18:19], s[6:7], s3, v17, v[2:3]
	v_mad_u64_u32 v[19:20], s[6:7], s2, v21, 0
	v_addc_co_u32_e32 v6, vcc, v1, v6, vcc
	v_mov_b32_e32 v16, v18
	v_mov_b32_e32 v2, v20
	global_store_dwordx2 v[5:6], v[22:23], off
	v_lshlrev_b64 v[5:6], 3, v[15:16]
	v_mad_u64_u32 v[15:16], s[6:7], s3, v21, v[2:3]
	v_add_u32_e32 v18, 0xee, v17
	v_add_co_u32_e32 v5, vcc, v0, v5
	v_mov_b32_e32 v20, v15
	v_mad_u64_u32 v[15:16], s[6:7], s2, v18, 0
	v_addc_co_u32_e32 v6, vcc, v1, v6, vcc
	v_mov_b32_e32 v2, v16
	global_store_dwordx2 v[5:6], v[71:72], off
	v_lshlrev_b64 v[5:6], 3, v[19:20]
	v_mad_u64_u32 v[18:19], s[6:7], s3, v18, v[2:3]
	v_add_u32_e32 v21, 0x165, v17
	v_mad_u64_u32 v[19:20], s[6:7], s2, v21, 0
	v_add_co_u32_e32 v5, vcc, v0, v5
	v_addc_co_u32_e32 v6, vcc, v1, v6, vcc
	v_mov_b32_e32 v16, v18
	v_mov_b32_e32 v2, v20
	global_store_dwordx2 v[5:6], v[67:68], off
	v_lshlrev_b64 v[5:6], 3, v[15:16]
	v_mad_u64_u32 v[15:16], s[6:7], s3, v21, v[2:3]
	v_add_u32_e32 v18, 51, v124
	v_mul_hi_u32 v2, v18, s0
	v_add_co_u32_e32 v5, vcc, v0, v5
	v_addc_co_u32_e32 v6, vcc, v1, v6, vcc
	v_mov_b32_e32 v20, v15
	v_add_u32_e32 v17, 0x1dc, v17
	global_store_dwordx2 v[5:6], v[69:70], off
	v_lshlrev_b64 v[5:6], 3, v[19:20]
	v_mad_u64_u32 v[15:16], s[6:7], s2, v17, 0
	v_lshrrev_b32_e32 v19, 5, v2
	v_mul_lo_u32 v20, v19, s1
	v_add_co_u32_e32 v5, vcc, v0, v5
	v_addc_co_u32_e32 v6, vcc, v1, v6, vcc
	v_mov_b32_e32 v2, v16
	global_store_dwordx2 v[5:6], v[39:40], off
	v_mad_u64_u32 v[5:6], s[6:7], s3, v17, v[2:3]
	v_sub_u32_e32 v2, v18, v20
	v_mad_u64_u32 v[17:18], s[6:7], v19, s4, v[2:3]
	v_mov_b32_e32 v16, v5
	v_lshlrev_b64 v[5:6], 3, v[15:16]
	v_mad_u64_u32 v[15:16], s[6:7], s2, v17, 0
	v_add_u32_e32 v21, 0x77, v17
	v_add_co_u32_e32 v5, vcc, v0, v5
	v_mov_b32_e32 v2, v16
	v_mad_u64_u32 v[18:19], s[6:7], s3, v17, v[2:3]
	v_mad_u64_u32 v[19:20], s[6:7], s2, v21, 0
	v_addc_co_u32_e32 v6, vcc, v1, v6, vcc
	v_mov_b32_e32 v16, v18
	v_mov_b32_e32 v2, v20
	global_store_dwordx2 v[5:6], v[37:38], off
	v_lshlrev_b64 v[5:6], 3, v[15:16]
	v_mad_u64_u32 v[15:16], s[6:7], s3, v21, v[2:3]
	v_add_u32_e32 v18, 0xee, v17
	v_add_co_u32_e32 v5, vcc, v0, v5
	v_mov_b32_e32 v20, v15
	v_mad_u64_u32 v[15:16], s[6:7], s2, v18, 0
	v_addc_co_u32_e32 v6, vcc, v1, v6, vcc
	v_mov_b32_e32 v2, v16
	global_store_dwordx2 v[5:6], v[65:66], off
	v_lshlrev_b64 v[5:6], 3, v[19:20]
	v_mad_u64_u32 v[18:19], s[6:7], s3, v18, v[2:3]
	v_add_u32_e32 v21, 0x165, v17
	v_mad_u64_u32 v[19:20], s[6:7], s2, v21, 0
	v_add_co_u32_e32 v5, vcc, v0, v5
	v_addc_co_u32_e32 v6, vcc, v1, v6, vcc
	v_mov_b32_e32 v16, v18
	v_mov_b32_e32 v2, v20
	global_store_dwordx2 v[5:6], v[49:50], off
	v_lshlrev_b64 v[5:6], 3, v[15:16]
	v_mad_u64_u32 v[15:16], s[6:7], s3, v21, v[2:3]
	v_add_u32_e32 v18, 0x44, v124
	v_mul_hi_u32 v2, v18, s0
	v_add_co_u32_e32 v5, vcc, v0, v5
	v_addc_co_u32_e32 v6, vcc, v1, v6, vcc
	v_mov_b32_e32 v20, v15
	v_add_u32_e32 v17, 0x1dc, v17
	global_store_dwordx2 v[5:6], v[63:64], off
	v_lshlrev_b64 v[5:6], 3, v[19:20]
	v_mad_u64_u32 v[15:16], s[6:7], s2, v17, 0
	v_lshrrev_b32_e32 v19, 5, v2
	v_mul_lo_u32 v20, v19, s1
	v_add_co_u32_e32 v5, vcc, v0, v5
	v_addc_co_u32_e32 v6, vcc, v1, v6, vcc
	v_mov_b32_e32 v2, v16
	global_store_dwordx2 v[5:6], v[47:48], off
	v_mad_u64_u32 v[5:6], s[6:7], s3, v17, v[2:3]
	v_sub_u32_e32 v2, v18, v20
	v_mad_u64_u32 v[17:18], s[6:7], v19, s4, v[2:3]
	v_mov_b32_e32 v16, v5
	v_lshlrev_b64 v[5:6], 3, v[15:16]
	v_mad_u64_u32 v[15:16], s[6:7], s2, v17, 0
	v_add_u32_e32 v21, 0x77, v17
	v_add_co_u32_e32 v5, vcc, v0, v5
	v_mov_b32_e32 v2, v16
	v_mad_u64_u32 v[18:19], s[6:7], s3, v17, v[2:3]
	v_mad_u64_u32 v[19:20], s[6:7], s2, v21, 0
	v_addc_co_u32_e32 v6, vcc, v1, v6, vcc
	v_mov_b32_e32 v16, v18
	v_mov_b32_e32 v2, v20
	global_store_dwordx2 v[5:6], v[45:46], off
	v_lshlrev_b64 v[5:6], 3, v[15:16]
	v_mad_u64_u32 v[15:16], s[6:7], s3, v21, v[2:3]
	v_add_u32_e32 v18, 0xee, v17
	v_add_co_u32_e32 v5, vcc, v0, v5
	v_mov_b32_e32 v20, v15
	v_mad_u64_u32 v[15:16], s[6:7], s2, v18, 0
	v_addc_co_u32_e32 v6, vcc, v1, v6, vcc
	v_mov_b32_e32 v2, v16
	global_store_dwordx2 v[5:6], v[59:60], off
	v_lshlrev_b64 v[5:6], 3, v[19:20]
	v_mad_u64_u32 v[18:19], s[6:7], s3, v18, v[2:3]
	v_add_u32_e32 v21, 0x165, v17
	v_mad_u64_u32 v[19:20], s[6:7], s2, v21, 0
	v_add_co_u32_e32 v5, vcc, v0, v5
	v_addc_co_u32_e32 v6, vcc, v1, v6, vcc
	v_mov_b32_e32 v16, v18
	v_mov_b32_e32 v2, v20
	global_store_dwordx2 v[5:6], v[53:54], off
	v_lshlrev_b64 v[5:6], 3, v[15:16]
	v_mad_u64_u32 v[15:16], s[6:7], s3, v21, v[2:3]
	v_add_u32_e32 v18, 0x55, v124
	v_mul_hi_u32 v2, v18, s0
	v_add_co_u32_e32 v5, vcc, v0, v5
	v_addc_co_u32_e32 v6, vcc, v1, v6, vcc
	v_mov_b32_e32 v20, v15
	v_add_u32_e32 v17, 0x1dc, v17
	global_store_dwordx2 v[5:6], v[56:57], off
	v_lshlrev_b64 v[5:6], 3, v[19:20]
	v_mad_u64_u32 v[15:16], s[6:7], s2, v17, 0
	v_lshrrev_b32_e32 v19, 5, v2
	v_mul_lo_u32 v20, v19, s1
	v_add_co_u32_e32 v5, vcc, v0, v5
	v_addc_co_u32_e32 v6, vcc, v1, v6, vcc
	v_mov_b32_e32 v2, v16
	global_store_dwordx2 v[5:6], v[51:52], off
	v_mad_u64_u32 v[5:6], s[6:7], s3, v17, v[2:3]
	v_sub_u32_e32 v2, v18, v20
	v_mad_u64_u32 v[17:18], s[6:7], v19, s4, v[2:3]
	v_mov_b32_e32 v16, v5
	v_lshlrev_b64 v[5:6], 3, v[15:16]
	v_mad_u64_u32 v[15:16], s[6:7], s2, v17, 0
	v_add_u32_e32 v21, 0x77, v17
	v_add_co_u32_e32 v5, vcc, v0, v5
	v_mov_b32_e32 v2, v16
	v_mad_u64_u32 v[18:19], s[6:7], s3, v17, v[2:3]
	v_mad_u64_u32 v[19:20], s[6:7], s2, v21, 0
	v_addc_co_u32_e32 v6, vcc, v1, v6, vcc
	v_mov_b32_e32 v16, v18
	v_mov_b32_e32 v2, v20
	global_store_dwordx2 v[5:6], v[43:44], off
	v_lshlrev_b64 v[5:6], 3, v[15:16]
	v_mad_u64_u32 v[15:16], s[6:7], s3, v21, v[2:3]
	v_add_u32_e32 v18, 0xee, v17
	v_add_co_u32_e32 v5, vcc, v0, v5
	v_mov_b32_e32 v20, v15
	v_mad_u64_u32 v[15:16], s[6:7], s2, v18, 0
	v_addc_co_u32_e32 v6, vcc, v1, v6, vcc
	v_mov_b32_e32 v2, v16
	global_store_dwordx2 v[5:6], v[35:36], off
	v_lshlrev_b64 v[5:6], 3, v[19:20]
	v_mad_u64_u32 v[18:19], s[6:7], s3, v18, v[2:3]
	v_add_u32_e32 v21, 0x165, v17
	v_mad_u64_u32 v[19:20], s[6:7], s2, v21, 0
	v_add_co_u32_e32 v5, vcc, v0, v5
	v_addc_co_u32_e32 v6, vcc, v1, v6, vcc
	v_mov_b32_e32 v16, v18
	v_mov_b32_e32 v2, v20
	global_store_dwordx2 v[5:6], v[31:32], off
	v_lshlrev_b64 v[5:6], 3, v[15:16]
	v_mad_u64_u32 v[15:16], s[6:7], s3, v21, v[2:3]
	v_add_u32_e32 v18, 0x66, v124
	v_mul_hi_u32 v2, v18, s0
	v_add_co_u32_e32 v5, vcc, v0, v5
	v_addc_co_u32_e32 v6, vcc, v1, v6, vcc
	v_mov_b32_e32 v20, v15
	global_store_dwordx2 v[5:6], v[33:34], off
	v_lshlrev_b64 v[5:6], 3, v[19:20]
	v_add_u32_e32 v19, 0x1dc, v17
	v_lshrrev_b32_e32 v17, 5, v2
	v_mad_u64_u32 v[15:16], s[6:7], s2, v19, 0
	v_mul_lo_u32 v20, v17, s1
	v_add_co_u32_e32 v5, vcc, v0, v5
	v_mov_b32_e32 v2, v16
	v_sub_u32_e32 v16, v18, v20
	v_mad_u64_u32 v[17:18], s[0:1], v17, s4, v[16:17]
	v_mad_u64_u32 v[18:19], s[0:1], s3, v19, v[2:3]
	;; [unrolled: 1-line block ×3, first 2 shown]
	v_addc_co_u32_e32 v6, vcc, v1, v6, vcc
	v_mov_b32_e32 v16, v18
	v_mov_b32_e32 v2, v20
	global_store_dwordx2 v[5:6], v[29:30], off
	v_lshlrev_b64 v[5:6], 3, v[15:16]
	v_mad_u64_u32 v[15:16], s[0:1], s3, v17, v[2:3]
	v_add_u32_e32 v18, 0x77, v17
	v_add_co_u32_e32 v5, vcc, v0, v5
	v_mov_b32_e32 v20, v15
	v_mad_u64_u32 v[15:16], s[0:1], s2, v18, 0
	v_addc_co_u32_e32 v6, vcc, v1, v6, vcc
	v_mov_b32_e32 v2, v16
	global_store_dwordx2 v[5:6], v[27:28], off
	v_lshlrev_b64 v[5:6], 3, v[19:20]
	v_mad_u64_u32 v[18:19], s[0:1], s3, v18, v[2:3]
	v_add_u32_e32 v21, 0xee, v17
	v_mad_u64_u32 v[19:20], s[0:1], s2, v21, 0
	v_add_co_u32_e32 v5, vcc, v0, v5
	v_addc_co_u32_e32 v6, vcc, v1, v6, vcc
	v_mov_b32_e32 v2, v20
	global_store_dwordx2 v[5:6], v[13:14], off
	v_mov_b32_e32 v16, v18
	v_mad_u64_u32 v[13:14], s[0:1], s3, v21, v[2:3]
	v_lshlrev_b64 v[5:6], 3, v[15:16]
	v_add_u32_e32 v15, 0x1dc, v17
	v_add_co_u32_e32 v5, vcc, v0, v5
	v_addc_co_u32_e32 v6, vcc, v1, v6, vcc
	v_mov_b32_e32 v20, v13
	v_add_u32_e32 v13, 0x165, v17
	global_store_dwordx2 v[5:6], v[11:12], off
	v_mad_u64_u32 v[11:12], s[0:1], s2, v13, 0
	v_lshlrev_b64 v[5:6], 3, v[19:20]
	v_mov_b32_e32 v2, v12
	v_mad_u64_u32 v[12:13], s[0:1], s3, v13, v[2:3]
	v_mad_u64_u32 v[13:14], s[0:1], s2, v15, 0
	v_add_co_u32_e32 v5, vcc, v0, v5
	v_addc_co_u32_e32 v6, vcc, v1, v6, vcc
	v_mov_b32_e32 v2, v14
	global_store_dwordx2 v[5:6], v[9:10], off
	v_mad_u64_u32 v[9:10], s[0:1], s3, v15, v[2:3]
	v_lshlrev_b64 v[5:6], 3, v[11:12]
	v_add_co_u32_e32 v5, vcc, v0, v5
	v_addc_co_u32_e32 v6, vcc, v1, v6, vcc
	v_mov_b32_e32 v14, v9
	global_store_dwordx2 v[5:6], v[7:8], off
	v_lshlrev_b64 v[5:6], 3, v[13:14]
	v_add_co_u32_e32 v0, vcc, v0, v5
	v_addc_co_u32_e32 v1, vcc, v1, v6, vcc
	global_store_dwordx2 v[0:1], v[3:4], off
.LBB0_22:
	s_endpgm
	.section	.rodata,"a",@progbits
	.p2align	6, 0x0
	.amdhsa_kernel fft_rtc_fwd_len595_factors_7_17_5_wgs_51_tpt_17_halfLds_sp_op_CI_CI_sbrr_dirReg
		.amdhsa_group_segment_fixed_size 0
		.amdhsa_private_segment_fixed_size 0
		.amdhsa_kernarg_size 104
		.amdhsa_user_sgpr_count 6
		.amdhsa_user_sgpr_private_segment_buffer 1
		.amdhsa_user_sgpr_dispatch_ptr 0
		.amdhsa_user_sgpr_queue_ptr 0
		.amdhsa_user_sgpr_kernarg_segment_ptr 1
		.amdhsa_user_sgpr_dispatch_id 0
		.amdhsa_user_sgpr_flat_scratch_init 0
		.amdhsa_user_sgpr_private_segment_size 0
		.amdhsa_uses_dynamic_stack 0
		.amdhsa_system_sgpr_private_segment_wavefront_offset 0
		.amdhsa_system_sgpr_workgroup_id_x 1
		.amdhsa_system_sgpr_workgroup_id_y 0
		.amdhsa_system_sgpr_workgroup_id_z 0
		.amdhsa_system_sgpr_workgroup_info 0
		.amdhsa_system_vgpr_workitem_id 0
		.amdhsa_next_free_vgpr 203
		.amdhsa_next_free_sgpr 32
		.amdhsa_reserve_vcc 1
		.amdhsa_reserve_flat_scratch 0
		.amdhsa_float_round_mode_32 0
		.amdhsa_float_round_mode_16_64 0
		.amdhsa_float_denorm_mode_32 3
		.amdhsa_float_denorm_mode_16_64 3
		.amdhsa_dx10_clamp 1
		.amdhsa_ieee_mode 1
		.amdhsa_fp16_overflow 0
		.amdhsa_exception_fp_ieee_invalid_op 0
		.amdhsa_exception_fp_denorm_src 0
		.amdhsa_exception_fp_ieee_div_zero 0
		.amdhsa_exception_fp_ieee_overflow 0
		.amdhsa_exception_fp_ieee_underflow 0
		.amdhsa_exception_fp_ieee_inexact 0
		.amdhsa_exception_int_div_zero 0
	.end_amdhsa_kernel
	.text
.Lfunc_end0:
	.size	fft_rtc_fwd_len595_factors_7_17_5_wgs_51_tpt_17_halfLds_sp_op_CI_CI_sbrr_dirReg, .Lfunc_end0-fft_rtc_fwd_len595_factors_7_17_5_wgs_51_tpt_17_halfLds_sp_op_CI_CI_sbrr_dirReg
                                        ; -- End function
	.section	.AMDGPU.csdata,"",@progbits
; Kernel info:
; codeLenInByte = 29016
; NumSgprs: 36
; NumVgprs: 203
; ScratchSize: 0
; MemoryBound: 0
; FloatMode: 240
; IeeeMode: 1
; LDSByteSize: 0 bytes/workgroup (compile time only)
; SGPRBlocks: 4
; VGPRBlocks: 50
; NumSGPRsForWavesPerEU: 36
; NumVGPRsForWavesPerEU: 203
; Occupancy: 1
; WaveLimiterHint : 1
; COMPUTE_PGM_RSRC2:SCRATCH_EN: 0
; COMPUTE_PGM_RSRC2:USER_SGPR: 6
; COMPUTE_PGM_RSRC2:TRAP_HANDLER: 0
; COMPUTE_PGM_RSRC2:TGID_X_EN: 1
; COMPUTE_PGM_RSRC2:TGID_Y_EN: 0
; COMPUTE_PGM_RSRC2:TGID_Z_EN: 0
; COMPUTE_PGM_RSRC2:TIDIG_COMP_CNT: 0
	.type	__hip_cuid_58cb870183e71670,@object ; @__hip_cuid_58cb870183e71670
	.section	.bss,"aw",@nobits
	.globl	__hip_cuid_58cb870183e71670
__hip_cuid_58cb870183e71670:
	.byte	0                               ; 0x0
	.size	__hip_cuid_58cb870183e71670, 1

	.ident	"AMD clang version 19.0.0git (https://github.com/RadeonOpenCompute/llvm-project roc-6.4.0 25133 c7fe45cf4b819c5991fe208aaa96edf142730f1d)"
	.section	".note.GNU-stack","",@progbits
	.addrsig
	.addrsig_sym __hip_cuid_58cb870183e71670
	.amdgpu_metadata
---
amdhsa.kernels:
  - .args:
      - .actual_access:  read_only
        .address_space:  global
        .offset:         0
        .size:           8
        .value_kind:     global_buffer
      - .offset:         8
        .size:           8
        .value_kind:     by_value
      - .actual_access:  read_only
        .address_space:  global
        .offset:         16
        .size:           8
        .value_kind:     global_buffer
      - .actual_access:  read_only
        .address_space:  global
        .offset:         24
        .size:           8
        .value_kind:     global_buffer
      - .actual_access:  read_only
        .address_space:  global
        .offset:         32
        .size:           8
        .value_kind:     global_buffer
      - .offset:         40
        .size:           8
        .value_kind:     by_value
      - .actual_access:  read_only
        .address_space:  global
        .offset:         48
        .size:           8
        .value_kind:     global_buffer
      - .actual_access:  read_only
        .address_space:  global
        .offset:         56
        .size:           8
        .value_kind:     global_buffer
      - .offset:         64
        .size:           4
        .value_kind:     by_value
      - .actual_access:  read_only
        .address_space:  global
        .offset:         72
        .size:           8
        .value_kind:     global_buffer
      - .actual_access:  read_only
        .address_space:  global
        .offset:         80
        .size:           8
        .value_kind:     global_buffer
      - .actual_access:  read_only
        .address_space:  global
        .offset:         88
        .size:           8
        .value_kind:     global_buffer
      - .actual_access:  write_only
        .address_space:  global
        .offset:         96
        .size:           8
        .value_kind:     global_buffer
    .group_segment_fixed_size: 0
    .kernarg_segment_align: 8
    .kernarg_segment_size: 104
    .language:       OpenCL C
    .language_version:
      - 2
      - 0
    .max_flat_workgroup_size: 51
    .name:           fft_rtc_fwd_len595_factors_7_17_5_wgs_51_tpt_17_halfLds_sp_op_CI_CI_sbrr_dirReg
    .private_segment_fixed_size: 0
    .sgpr_count:     36
    .sgpr_spill_count: 0
    .symbol:         fft_rtc_fwd_len595_factors_7_17_5_wgs_51_tpt_17_halfLds_sp_op_CI_CI_sbrr_dirReg.kd
    .uniform_work_group_size: 1
    .uses_dynamic_stack: false
    .vgpr_count:     203
    .vgpr_spill_count: 0
    .wavefront_size: 64
amdhsa.target:   amdgcn-amd-amdhsa--gfx906
amdhsa.version:
  - 1
  - 2
...

	.end_amdgpu_metadata
